;; amdgpu-corpus repo=ROCm/rocFFT kind=compiled arch=gfx906 opt=O3
	.text
	.amdgcn_target "amdgcn-amd-amdhsa--gfx906"
	.amdhsa_code_object_version 6
	.protected	bluestein_single_back_len975_dim1_sp_op_CI_CI ; -- Begin function bluestein_single_back_len975_dim1_sp_op_CI_CI
	.globl	bluestein_single_back_len975_dim1_sp_op_CI_CI
	.p2align	8
	.type	bluestein_single_back_len975_dim1_sp_op_CI_CI,@function
bluestein_single_back_len975_dim1_sp_op_CI_CI: ; @bluestein_single_back_len975_dim1_sp_op_CI_CI
; %bb.0:
	v_mul_u32_u24_e32 v1, 0x691, v0
	s_mov_b64 s[26:27], s[2:3]
	s_load_dwordx4 s[8:11], s[4:5], 0x28
	v_lshrrev_b32_e32 v1, 16, v1
	s_mov_b64 s[24:25], s[0:1]
	v_mad_u64_u32 v[181:182], s[0:1], s6, 3, v[1:2]
	v_mov_b32_e32 v186, 0
	v_mov_b32_e32 v182, v186
	s_add_u32 s24, s24, s7
	s_waitcnt lgkmcnt(0)
	v_cmp_gt_u64_e32 vcc, s[8:9], v[181:182]
	s_addc_u32 s25, s25, 0
	s_and_saveexec_b64 s[0:1], vcc
	s_cbranch_execz .LBB0_23
; %bb.1:
	s_load_dwordx4 s[0:3], s[4:5], 0x18
	s_load_dwordx2 s[16:17], s[4:5], 0x0
	v_mul_lo_u16_e32 v1, 39, v1
	v_sub_u16_e32 v185, v0, v1
	v_lshlrev_b32_e32 v142, 3, v185
	s_waitcnt lgkmcnt(0)
	s_load_dwordx4 s[12:15], s[0:1], 0x0
	v_add_co_u32_e64 v199, s[6:7], s16, v142
	s_waitcnt lgkmcnt(0)
	v_mad_u64_u32 v[0:1], s[0:1], s14, v181, 0
	v_mad_u64_u32 v[2:3], s[0:1], s12, v185, 0
	;; [unrolled: 1-line block ×4, first 2 shown]
	v_mov_b32_e32 v1, v4
	v_lshlrev_b64 v[0:1], 3, v[0:1]
	v_mov_b32_e32 v6, s11
	v_mov_b32_e32 v3, v5
	v_add_co_u32_e32 v4, vcc, s10, v0
	v_addc_co_u32_e32 v5, vcc, v6, v1, vcc
	v_lshlrev_b64 v[0:1], 3, v[2:3]
	s_mul_i32 s0, s13, 0x4b
	s_mul_hi_u32 s1, s12, 0x4b
	v_add_co_u32_e32 v0, vcc, v4, v0
	v_mov_b32_e32 v2, s17
	s_add_i32 s1, s1, s0
	s_mul_i32 s0, s12, 0x4b
	v_addc_co_u32_e32 v1, vcc, v5, v1, vcc
	v_addc_co_u32_e64 v200, vcc, 0, v2, s[6:7]
	s_lshl_b64 s[18:19], s[0:1], 3
	v_mov_b32_e32 v28, s19
	v_add_co_u32_e32 v2, vcc, s18, v0
	v_addc_co_u32_e32 v3, vcc, v1, v28, vcc
	v_add_co_u32_e32 v4, vcc, s18, v2
	v_addc_co_u32_e32 v5, vcc, v3, v28, vcc
	v_add_co_u32_e32 v6, vcc, s18, v4
	v_addc_co_u32_e32 v7, vcc, v5, v28, vcc
	global_load_dwordx2 v[8:9], v[0:1], off
	global_load_dwordx2 v[10:11], v[2:3], off
	;; [unrolled: 1-line block ×4, first 2 shown]
	global_load_dwordx2 v[195:196], v142, s[16:17]
	global_load_dwordx2 v[216:217], v142, s[16:17] offset:600
	global_load_dwordx2 v[193:194], v142, s[16:17] offset:1200
	;; [unrolled: 1-line block ×3, first 2 shown]
	v_add_co_u32_e32 v0, vcc, s18, v6
	v_addc_co_u32_e32 v1, vcc, v7, v28, vcc
	global_load_dwordx2 v[4:5], v[0:1], off
	v_add_co_u32_e32 v0, vcc, s18, v0
	v_addc_co_u32_e32 v1, vcc, v1, v28, vcc
	global_load_dwordx2 v[6:7], v[0:1], off
	v_add_co_u32_e32 v0, vcc, s18, v0
	v_addc_co_u32_e32 v1, vcc, v1, v28, vcc
	v_add_co_u32_e32 v2, vcc, s18, v0
	global_load_dwordx2 v[16:17], v[0:1], off
	global_load_dwordx2 v[191:192], v142, s[16:17] offset:2400
	global_load_dwordx2 v[187:188], v142, s[16:17] offset:3000
	;; [unrolled: 1-line block ×3, first 2 shown]
	v_addc_co_u32_e32 v3, vcc, v1, v28, vcc
	s_movk_i32 s0, 0x1000
	v_add_co_u32_e32 v0, vcc, s0, v199
	v_addc_co_u32_e32 v1, vcc, 0, v200, vcc
	global_load_dwordx2 v[18:19], v[2:3], off
	global_load_dwordx2 v[179:180], v[0:1], off offset:104
	v_add_co_u32_e32 v2, vcc, s18, v2
	v_addc_co_u32_e32 v3, vcc, v3, v28, vcc
	global_load_dwordx2 v[20:21], v[2:3], off
	v_add_co_u32_e32 v2, vcc, s18, v2
	v_addc_co_u32_e32 v3, vcc, v3, v28, vcc
	global_load_dwordx2 v[32:33], v[0:1], off offset:704
	global_load_dwordx2 v[22:23], v[2:3], off
	global_load_dwordx2 v[177:178], v[0:1], off offset:1304
	s_mov_b32 s0, 0xaaaaaaab
	v_mul_hi_u32 v30, v181, s0
	v_add_co_u32_e32 v2, vcc, s18, v2
	v_addc_co_u32_e32 v3, vcc, v3, v28, vcc
	v_lshrrev_b32_e32 v30, 1, v30
	v_lshl_add_u32 v30, v30, 1, v30
	v_sub_u32_e32 v30, v181, v30
	global_load_dwordx2 v[24:25], v[2:3], off
	global_load_dwordx2 v[175:176], v[0:1], off offset:1904
	v_add_co_u32_e32 v2, vcc, s18, v2
	v_mul_u32_u24_e32 v143, 0x3cf, v30
	v_addc_co_u32_e32 v3, vcc, v3, v28, vcc
	global_load_dwordx2 v[26:27], v[2:3], off
	global_load_dwordx2 v[211:212], v[0:1], off offset:2504
	v_add_co_u32_e32 v2, vcc, s18, v2
	v_lshlrev_b32_e32 v171, 3, v143
	v_addc_co_u32_e32 v3, vcc, v3, v28, vcc
	v_add_u32_e32 v205, v142, v171
	global_load_dwordx2 v[28:29], v[2:3], off
	global_load_dwordx2 v[34:35], v[0:1], off offset:3104
	s_load_dwordx2 s[14:15], s[4:5], 0x38
	s_load_dwordx4 s[8:11], s[2:3], 0x0
	v_cmp_gt_u16_e64 s[0:1], 36, v185
	s_waitcnt vmcnt(21)
	v_mul_f32_e32 v30, v9, v196
	v_fmac_f32_e32 v30, v8, v195
	v_mul_f32_e32 v8, v8, v196
	v_fma_f32 v31, v9, v195, -v8
	s_waitcnt vmcnt(20)
	v_mul_f32_e32 v8, v11, v217
	v_mul_f32_e32 v9, v10, v217
	v_fmac_f32_e32 v8, v10, v216
	v_fma_f32 v9, v11, v216, -v9
	ds_write2_b64 v205, v[30:31], v[8:9] offset1:75
	s_waitcnt vmcnt(19)
	v_mul_f32_e32 v8, v13, v194
	v_mul_f32_e32 v9, v12, v194
	s_waitcnt vmcnt(18)
	v_mul_f32_e32 v10, v15, v190
	v_mul_f32_e32 v11, v14, v190
	v_fmac_f32_e32 v8, v12, v193
	v_fma_f32 v9, v13, v193, -v9
	v_fmac_f32_e32 v10, v14, v189
	v_fma_f32 v11, v15, v189, -v11
	ds_write2_b64 v205, v[8:9], v[10:11] offset0:150 offset1:225
	s_waitcnt vmcnt(14)
	v_mul_f32_e32 v8, v5, v192
	v_fmac_f32_e32 v8, v4, v191
	v_mul_f32_e32 v4, v4, v192
	v_fma_f32 v9, v5, v191, -v4
	s_waitcnt vmcnt(13)
	v_mul_f32_e32 v5, v7, v188
	v_mul_f32_e32 v4, v6, v188
	v_fmac_f32_e32 v5, v6, v187
	v_fma_f32 v6, v7, v187, -v4
	v_add_u32_e32 v4, 0x800, v205
	ds_write2_b64 v4, v[8:9], v[5:6] offset0:44 offset1:119
	s_waitcnt vmcnt(12)
	v_mul_f32_e32 v5, v16, v184
	v_mul_f32_e32 v6, v17, v184
	v_fma_f32 v7, v17, v183, -v5
	s_waitcnt vmcnt(10)
	v_mul_f32_e32 v8, v19, v180
	v_mul_f32_e32 v5, v18, v180
	v_fmac_f32_e32 v6, v16, v183
	v_fmac_f32_e32 v8, v18, v179
	v_fma_f32 v9, v19, v179, -v5
	v_add_u32_e32 v5, 0xc00, v205
	ds_write2_b64 v5, v[6:7], v[8:9] offset0:66 offset1:141
	s_waitcnt vmcnt(8)
	v_mul_f32_e32 v7, v21, v33
	v_fmac_f32_e32 v7, v20, v32
	v_mul_f32_e32 v6, v20, v33
	buffer_store_dword v32, off, s[24:27], 0 ; 4-byte Folded Spill
	s_nop 0
	buffer_store_dword v33, off, s[24:27], 0 offset:4 ; 4-byte Folded Spill
	s_waitcnt vmcnt(8)
	v_mul_f32_e32 v9, v23, v178
	v_fmac_f32_e32 v9, v22, v177
	v_fma_f32 v8, v21, v32, -v6
	v_mul_f32_e32 v6, v22, v178
	v_fma_f32 v10, v23, v177, -v6
	v_add_u32_e32 v6, 0x1000, v205
	ds_write2_b64 v6, v[7:8], v[9:10] offset0:88 offset1:163
	s_waitcnt vmcnt(6)
	v_mul_f32_e32 v7, v24, v176
	v_mul_f32_e32 v8, v25, v176
	v_fma_f32 v9, v25, v175, -v7
	s_waitcnt vmcnt(4)
	v_mul_f32_e32 v10, v27, v212
	v_mul_f32_e32 v7, v26, v212
	v_fmac_f32_e32 v8, v24, v175
	v_fmac_f32_e32 v10, v26, v211
	v_fma_f32 v11, v27, v211, -v7
	v_add_u32_e32 v7, 0x1400, v205
	ds_write2_b64 v7, v[8:9], v[10:11] offset0:110 offset1:185
	s_waitcnt vmcnt(2)
	v_mul_f32_e32 v8, v29, v35
	v_fmac_f32_e32 v8, v28, v34
	v_mul_f32_e32 v9, v28, v35
	buffer_store_dword v34, off, s[24:27], 0 offset:8 ; 4-byte Folded Spill
	s_nop 0
	buffer_store_dword v35, off, s[24:27], 0 offset:12 ; 4-byte Folded Spill
	v_fma_f32 v9, v29, v34, -v9
	ds_write_b64 v205, v[8:9] offset:7200
	s_and_saveexec_b64 s[2:3], s[0:1]
	s_cbranch_execz .LBB0_3
; %bb.2:
	v_mov_b32_e32 v8, 0xffffe518
	v_mad_u64_u32 v[2:3], s[20:21], s12, v8, v[2:3]
	s_mulk_i32 s13, 0xe518
	s_sub_i32 s12, s13, s12
	v_add_u32_e32 v3, s12, v3
	global_load_dwordx2 v[8:9], v[2:3], off
	v_mov_b32_e32 v56, s19
	v_add_co_u32_e32 v2, vcc, s18, v2
	v_addc_co_u32_e32 v3, vcc, v3, v56, vcc
	global_load_dwordx2 v[10:11], v[2:3], off
	v_add_co_u32_e32 v2, vcc, s18, v2
	v_addc_co_u32_e32 v3, vcc, v3, v56, vcc
	global_load_dwordx2 v[12:13], v[2:3], off
	;; [unrolled: 3-line block ×3, first 2 shown]
	global_load_dwordx2 v[16:17], v[199:200], off offset:312
	global_load_dwordx2 v[18:19], v[199:200], off offset:912
	;; [unrolled: 1-line block ×4, first 2 shown]
	v_add_co_u32_e32 v2, vcc, s18, v2
	v_addc_co_u32_e32 v3, vcc, v3, v56, vcc
	global_load_dwordx2 v[24:25], v[2:3], off
	global_load_dwordx2 v[26:27], v[199:200], off offset:2712
	v_add_co_u32_e32 v2, vcc, s18, v2
	v_addc_co_u32_e32 v3, vcc, v3, v56, vcc
	global_load_dwordx2 v[28:29], v[2:3], off
	v_add_co_u32_e32 v2, vcc, s18, v2
	v_addc_co_u32_e32 v3, vcc, v3, v56, vcc
	global_load_dwordx2 v[30:31], v[2:3], off
	v_add_co_u32_e32 v2, vcc, s18, v2
	v_addc_co_u32_e32 v3, vcc, v3, v56, vcc
	global_load_dwordx2 v[32:33], v[199:200], off offset:3312
	global_load_dwordx2 v[34:35], v[2:3], off
	global_load_dwordx2 v[36:37], v[199:200], off offset:3912
	global_load_dwordx2 v[38:39], v[0:1], off offset:416
	v_add_co_u32_e32 v2, vcc, s18, v2
	v_addc_co_u32_e32 v3, vcc, v3, v56, vcc
	global_load_dwordx2 v[40:41], v[2:3], off
	v_add_co_u32_e32 v2, vcc, s18, v2
	v_addc_co_u32_e32 v3, vcc, v3, v56, vcc
	global_load_dwordx2 v[42:43], v[2:3], off
	global_load_dwordx2 v[44:45], v[0:1], off offset:1016
	global_load_dwordx2 v[46:47], v[0:1], off offset:1616
	v_add_co_u32_e32 v2, vcc, s18, v2
	v_addc_co_u32_e32 v3, vcc, v3, v56, vcc
	global_load_dwordx2 v[48:49], v[2:3], off
	global_load_dwordx2 v[50:51], v[0:1], off offset:2216
	v_add_co_u32_e32 v2, vcc, s18, v2
	v_addc_co_u32_e32 v3, vcc, v3, v56, vcc
	global_load_dwordx2 v[52:53], v[2:3], off
	global_load_dwordx2 v[54:55], v[0:1], off offset:2816
	v_add_co_u32_e32 v2, vcc, s18, v2
	v_addc_co_u32_e32 v3, vcc, v3, v56, vcc
	global_load_dwordx2 v[56:57], v[0:1], off offset:3416
	global_load_dwordx2 v[58:59], v[2:3], off
	s_waitcnt vmcnt(21)
	v_mul_f32_e32 v0, v9, v17
	v_mul_f32_e32 v1, v8, v17
	s_waitcnt vmcnt(20)
	v_mul_f32_e32 v2, v11, v19
	v_mul_f32_e32 v3, v10, v19
	v_fmac_f32_e32 v0, v8, v16
	v_fma_f32 v1, v9, v16, -v1
	v_fmac_f32_e32 v2, v10, v18
	v_fma_f32 v3, v11, v18, -v3
	ds_write2_b64 v205, v[0:1], v[2:3] offset0:39 offset1:114
	s_waitcnt vmcnt(19)
	v_mul_f32_e32 v0, v13, v21
	v_mul_f32_e32 v1, v12, v21
	s_waitcnt vmcnt(18)
	v_mul_f32_e32 v2, v15, v23
	v_mul_f32_e32 v3, v14, v23
	v_fmac_f32_e32 v0, v12, v20
	v_fma_f32 v1, v13, v20, -v1
	v_fmac_f32_e32 v2, v14, v22
	v_fma_f32 v3, v15, v22, -v3
	v_add_u32_e32 v8, 0x400, v205
	ds_write2_b64 v8, v[0:1], v[2:3] offset0:61 offset1:136
	s_waitcnt vmcnt(16)
	v_mul_f32_e32 v0, v25, v27
	v_mul_f32_e32 v1, v24, v27
	s_waitcnt vmcnt(13)
	v_mul_f32_e32 v2, v29, v33
	v_mul_f32_e32 v3, v28, v33
	v_fmac_f32_e32 v0, v24, v26
	v_fma_f32 v1, v25, v26, -v1
	v_fmac_f32_e32 v2, v28, v32
	v_fma_f32 v3, v29, v32, -v3
	ds_write2_b64 v4, v[0:1], v[2:3] offset0:83 offset1:158
	s_waitcnt vmcnt(11)
	v_mul_f32_e32 v0, v31, v37
	v_mul_f32_e32 v1, v30, v37
	s_waitcnt vmcnt(10)
	v_mul_f32_e32 v2, v35, v39
	v_mul_f32_e32 v3, v34, v39
	v_fmac_f32_e32 v0, v30, v36
	v_fma_f32 v1, v31, v36, -v1
	v_fmac_f32_e32 v2, v34, v38
	v_fma_f32 v3, v35, v38, -v3
	;; [unrolled: 11-line block ×4, first 2 shown]
	v_add_u32_e32 v8, 0x1800, v205
	ds_write2_b64 v8, v[0:1], v[2:3] offset0:21 offset1:96
	s_waitcnt vmcnt(0)
	v_mul_f32_e32 v0, v59, v57
	v_mul_f32_e32 v1, v58, v57
	v_fmac_f32_e32 v0, v58, v56
	v_fma_f32 v1, v59, v56, -v1
	ds_write_b64 v205, v[0:1] offset:7512
.LBB0_3:
	s_or_b64 exec, exec, s[2:3]
	s_waitcnt vmcnt(0) lgkmcnt(0)
	s_barrier
	ds_read2_b64 v[44:47], v205 offset1:75
	ds_read2_b64 v[36:39], v205 offset0:150 offset1:225
	ds_read2_b64 v[28:31], v4 offset0:44 offset1:119
	;; [unrolled: 1-line block ×5, first 2 shown]
	ds_read_b64 v[52:53], v205 offset:7200
	s_load_dwordx2 s[12:13], s[4:5], 0x8
	v_mov_b32_e32 v0, 0
	v_mov_b32_e32 v1, 0
                                        ; implicit-def: $vgpr6
                                        ; implicit-def: $vgpr16
                                        ; implicit-def: $vgpr20
                                        ; implicit-def: $vgpr48
                                        ; implicit-def: $vgpr14
                                        ; implicit-def: $vgpr10
	s_and_saveexec_b64 s[2:3], s[0:1]
	s_cbranch_execz .LBB0_5
; %bb.4:
	v_add_u32_e32 v4, 0x400, v205
	ds_read2_b64 v[8:11], v4 offset0:61 offset1:136
	v_add_u32_e32 v4, 0x800, v205
	ds_read2_b64 v[12:15], v4 offset0:83 offset1:158
	v_add_u32_e32 v4, 0xc00, v205
	v_add_u32_e32 v16, 0x1000, v205
	;; [unrolled: 1-line block ×3, first 2 shown]
	ds_read2_b64 v[0:3], v205 offset0:39 offset1:114
	ds_read2_b64 v[4:7], v4 offset0:105 offset1:180
	;; [unrolled: 1-line block ×4, first 2 shown]
	ds_read_b64 v[48:49], v205 offset:7512
.LBB0_5:
	s_or_b64 exec, exec, s[2:3]
	s_waitcnt lgkmcnt(0)
	v_add_f32_e32 v50, v44, v46
	v_add_f32_e32 v51, v45, v47
	;; [unrolled: 1-line block ×23, first 2 shown]
	v_sub_f32_e32 v46, v46, v52
	v_sub_f32_e32 v47, v47, v53
	v_add_f32_e32 v51, v51, v43
	v_add_f32_e32 v50, v50, v52
	v_mul_f32_e32 v52, 0xbeedf032, v47
	s_mov_b32 s4, 0x3f62ad3f
	v_mul_f32_e32 v57, 0xbeedf032, v46
	v_mul_f32_e32 v59, 0xbf52af12, v47
	s_mov_b32 s5, 0x3f116cb1
	v_mul_f32_e32 v61, 0xbf52af12, v46
	;; [unrolled: 3-line block ×6, first 2 shown]
	v_add_f32_e32 v51, v51, v53
	v_fma_f32 v53, v55, s4, -v52
	v_mov_b32_e32 v58, v57
	v_fmac_f32_e32 v52, 0x3f62ad3f, v55
	v_fma_f32 v60, v55, s5, -v59
	v_mov_b32_e32 v62, v61
	v_fmac_f32_e32 v59, 0x3f116cb1, v55
	;; [unrolled: 3-line block ×6, first 2 shown]
	v_add_f32_e32 v53, v44, v53
	v_fmac_f32_e32 v58, 0x3f62ad3f, v56
	v_add_f32_e32 v52, v44, v52
	v_fma_f32 v57, v56, s4, -v57
	v_add_f32_e32 v60, v44, v60
	v_fmac_f32_e32 v62, 0x3f116cb1, v56
	v_add_f32_e32 v59, v44, v59
	v_fma_f32 v61, v56, s5, -v61
	;; [unrolled: 4-line block ×6, first 2 shown]
	v_add_f32_e32 v47, v43, v37
	v_sub_f32_e32 v37, v37, v43
	v_add_f32_e32 v58, v45, v58
	v_add_f32_e32 v57, v45, v57
	;; [unrolled: 1-line block ×13, first 2 shown]
	v_sub_f32_e32 v36, v36, v42
	v_mul_f32_e32 v42, 0xbf52af12, v37
	v_fma_f32 v43, v46, s5, -v42
	v_add_f32_e32 v43, v43, v53
	v_mul_f32_e32 v53, 0xbf52af12, v36
	v_fmac_f32_e32 v42, 0x3f116cb1, v46
	v_mov_b32_e32 v55, v53
	v_add_f32_e32 v42, v42, v52
	v_fma_f32 v52, v47, s5, -v53
	v_mul_f32_e32 v53, 0xbf6f5d39, v37
	v_fmac_f32_e32 v55, 0x3f116cb1, v47
	v_add_f32_e32 v52, v52, v57
	v_fma_f32 v56, v46, s18, -v53
	v_mul_f32_e32 v57, 0xbf6f5d39, v36
	v_fmac_f32_e32 v53, 0xbeb58ec6, v46
	v_add_f32_e32 v55, v55, v58
	v_mov_b32_e32 v58, v57
	v_add_f32_e32 v53, v53, v59
	v_fma_f32 v57, v47, s18, -v57
	v_mul_f32_e32 v59, 0xbe750f2a, v37
	v_add_f32_e32 v56, v56, v60
	v_fmac_f32_e32 v58, 0xbeb58ec6, v47
	v_add_f32_e32 v57, v57, v61
	v_fma_f32 v60, v46, s20, -v59
	v_mul_f32_e32 v61, 0xbe750f2a, v36
	v_fmac_f32_e32 v59, 0xbf788fa5, v46
	v_add_f32_e32 v58, v58, v62
	v_mov_b32_e32 v62, v61
	v_add_f32_e32 v59, v59, v63
	v_fma_f32 v61, v47, s20, -v61
	v_mul_f32_e32 v63, 0x3f29c268, v37
	v_add_f32_e32 v60, v60, v64
	;; [unrolled: 11-line block ×3, first 2 shown]
	v_add_f32_e32 v65, v65, v69
	v_fma_f32 v68, v46, s16, -v67
	v_mul_f32_e32 v69, 0x3f7e222b, v36
	v_mul_f32_e32 v36, 0x3eedf032, v36
	v_add_f32_e32 v68, v68, v72
	v_fmac_f32_e32 v67, 0x3df6dbef, v46
	v_mul_f32_e32 v37, 0x3eedf032, v37
	v_mov_b32_e32 v72, v36
	v_fma_f32 v36, v47, s4, -v36
	v_add_f32_e32 v67, v67, v71
	v_fma_f32 v71, v46, s4, -v37
	v_fmac_f32_e32 v37, 0x3f62ad3f, v46
	v_add_f32_e32 v36, v36, v45
	v_add_f32_e32 v45, v41, v39
	v_sub_f32_e32 v39, v39, v41
	v_add_f32_e32 v37, v37, v44
	v_add_f32_e32 v44, v40, v38
	v_sub_f32_e32 v38, v38, v40
	v_mul_f32_e32 v40, 0xbf7e222b, v39
	v_fma_f32 v41, v44, s16, -v40
	v_fmac_f32_e32 v66, 0xbf3f9e67, v47
	v_add_f32_e32 v41, v41, v43
	v_mul_f32_e32 v43, 0xbf7e222b, v38
	v_fmac_f32_e32 v40, 0x3df6dbef, v44
	v_add_f32_e32 v66, v66, v70
	v_mov_b32_e32 v70, v69
	v_mov_b32_e32 v46, v43
	v_add_f32_e32 v40, v40, v42
	v_fma_f32 v42, v45, s16, -v43
	v_mul_f32_e32 v43, 0xbe750f2a, v39
	v_fmac_f32_e32 v70, 0x3df6dbef, v47
	v_fma_f32 v69, v47, s16, -v69
	v_fmac_f32_e32 v72, 0x3f62ad3f, v47
	v_fma_f32 v47, v44, s20, -v43
	v_fmac_f32_e32 v43, 0xbf788fa5, v44
	v_fmac_f32_e32 v46, 0x3df6dbef, v45
	v_add_f32_e32 v42, v42, v52
	v_mul_f32_e32 v52, 0xbe750f2a, v38
	v_add_f32_e32 v43, v43, v53
	v_mul_f32_e32 v53, 0x3f6f5d39, v39
	v_add_f32_e32 v46, v46, v55
	v_add_f32_e32 v47, v47, v56
	v_mov_b32_e32 v55, v52
	v_fma_f32 v52, v45, s20, -v52
	v_fma_f32 v56, v44, s18, -v53
	v_fmac_f32_e32 v53, 0xbeb58ec6, v44
	v_fmac_f32_e32 v55, 0xbf788fa5, v45
	v_add_f32_e32 v52, v52, v57
	v_mul_f32_e32 v57, 0x3f6f5d39, v38
	v_add_f32_e32 v53, v53, v59
	v_mul_f32_e32 v59, 0x3eedf032, v39
	v_add_f32_e32 v55, v55, v58
	v_add_f32_e32 v56, v56, v60
	v_mov_b32_e32 v58, v57
	v_fma_f32 v57, v45, s18, -v57
	;; [unrolled: 11-line block ×3, first 2 shown]
	v_fma_f32 v64, v44, s5, -v63
	v_fmac_f32_e32 v63, 0x3f116cb1, v44
	v_mul_f32_e32 v39, 0xbf29c268, v39
	v_add_f32_e32 v61, v61, v65
	v_mul_f32_e32 v65, 0xbf52af12, v38
	v_add_f32_e32 v63, v63, v67
	v_fma_f32 v67, v44, s19, -v39
	v_mul_f32_e32 v38, 0xbf29c268, v38
	v_fmac_f32_e32 v39, 0xbf3f9e67, v44
	v_add_f32_e32 v64, v64, v68
	v_mov_b32_e32 v68, v38
	v_add_f32_e32 v37, v39, v37
	v_fma_f32 v38, v45, s19, -v38
	v_add_f32_e32 v39, v35, v29
	v_sub_f32_e32 v29, v29, v35
	v_add_f32_e32 v36, v38, v36
	v_add_f32_e32 v38, v34, v28
	v_sub_f32_e32 v28, v28, v34
	v_mul_f32_e32 v34, 0xbf6f5d39, v29
	v_fma_f32 v35, v38, s18, -v34
	v_fmac_f32_e32 v62, 0x3f62ad3f, v45
	v_add_f32_e32 v35, v35, v41
	v_mul_f32_e32 v41, 0xbf6f5d39, v28
	v_fmac_f32_e32 v34, 0xbeb58ec6, v38
	v_add_f32_e32 v62, v62, v66
	v_mov_b32_e32 v66, v65
	v_mov_b32_e32 v44, v41
	v_add_f32_e32 v34, v34, v40
	v_fma_f32 v40, v39, s18, -v41
	v_mul_f32_e32 v41, 0x3f29c268, v29
	v_fmac_f32_e32 v66, 0x3f116cb1, v45
	v_fma_f32 v65, v45, s5, -v65
	v_fmac_f32_e32 v68, 0xbf3f9e67, v45
	v_fmac_f32_e32 v44, 0xbeb58ec6, v39
	v_add_f32_e32 v40, v40, v42
	v_fma_f32 v42, v38, s19, -v41
	v_mul_f32_e32 v45, 0x3f29c268, v28
	v_fmac_f32_e32 v41, 0xbf3f9e67, v38
	v_add_f32_e32 v44, v44, v46
	v_mov_b32_e32 v46, v45
	v_add_f32_e32 v41, v41, v43
	v_fma_f32 v43, v39, s19, -v45
	v_mul_f32_e32 v45, 0x3eedf032, v29
	v_add_f32_e32 v42, v42, v47
	v_fma_f32 v47, v38, s4, -v45
	v_fmac_f32_e32 v45, 0x3f62ad3f, v38
	v_fmac_f32_e32 v46, 0xbf3f9e67, v39
	v_add_f32_e32 v43, v43, v52
	v_mul_f32_e32 v52, 0x3eedf032, v28
	v_add_f32_e32 v45, v45, v53
	v_mul_f32_e32 v53, 0xbf7e222b, v29
	v_add_f32_e32 v46, v46, v55
	v_add_f32_e32 v47, v47, v56
	v_mov_b32_e32 v55, v52
	v_fma_f32 v52, v39, s4, -v52
	v_fma_f32 v56, v38, s16, -v53
	v_fmac_f32_e32 v53, 0x3df6dbef, v38
	v_fmac_f32_e32 v55, 0x3f62ad3f, v39
	v_add_f32_e32 v52, v52, v57
	v_mul_f32_e32 v57, 0xbf7e222b, v28
	v_add_f32_e32 v53, v53, v59
	v_mul_f32_e32 v59, 0x3e750f2a, v29
	v_add_f32_e32 v55, v55, v58
	v_add_f32_e32 v56, v56, v60
	v_mov_b32_e32 v58, v57
	v_fma_f32 v57, v39, s16, -v57
	v_fma_f32 v60, v38, s20, -v59
	v_fmac_f32_e32 v59, 0xbf788fa5, v38
	v_mul_f32_e32 v29, 0x3f52af12, v29
	v_add_f32_e32 v57, v57, v61
	v_mul_f32_e32 v61, 0x3e750f2a, v28
	v_add_f32_e32 v59, v59, v63
	v_fma_f32 v63, v38, s5, -v29
	v_mul_f32_e32 v28, 0x3f52af12, v28
	v_fmac_f32_e32 v29, 0x3f116cb1, v38
	v_add_f32_e32 v60, v60, v64
	v_mov_b32_e32 v64, v28
	v_add_f32_e32 v29, v29, v37
	v_fma_f32 v28, v39, s5, -v28
	v_add_f32_e32 v37, v33, v31
	v_sub_f32_e32 v31, v31, v33
	v_add_f32_e32 v28, v28, v36
	v_add_f32_e32 v36, v32, v30
	v_sub_f32_e32 v30, v30, v32
	v_mul_f32_e32 v32, 0xbf29c268, v31
	v_fma_f32 v33, v36, s19, -v32
	v_fmac_f32_e32 v58, 0x3df6dbef, v39
	v_add_f32_e32 v33, v33, v35
	v_mul_f32_e32 v35, 0xbf29c268, v30
	v_fmac_f32_e32 v32, 0xbf3f9e67, v36
	v_add_f32_e32 v58, v58, v62
	v_mov_b32_e32 v62, v61
	v_mov_b32_e32 v38, v35
	v_add_f32_e32 v32, v32, v34
	v_fma_f32 v34, v37, s19, -v35
	v_mul_f32_e32 v35, 0x3f7e222b, v31
	v_fmac_f32_e32 v62, 0xbf788fa5, v39
	v_fma_f32 v61, v39, s20, -v61
	v_fmac_f32_e32 v64, 0x3f116cb1, v39
	v_add_f32_e32 v34, v34, v40
	v_fma_f32 v39, v36, s16, -v35
	v_mul_f32_e32 v40, 0x3f7e222b, v30
	v_fmac_f32_e32 v35, 0x3df6dbef, v36
	v_add_f32_e32 v39, v39, v42
	v_mov_b32_e32 v42, v40
	v_add_f32_e32 v35, v35, v41
	v_fma_f32 v40, v37, s16, -v40
	v_mul_f32_e32 v41, 0xbf52af12, v31
	v_fmac_f32_e32 v38, 0xbf3f9e67, v37
	v_add_f32_e32 v40, v40, v43
	v_fma_f32 v43, v36, s5, -v41
	v_fmac_f32_e32 v41, 0x3f116cb1, v36
	v_add_f32_e32 v38, v38, v44
	v_fmac_f32_e32 v42, 0x3df6dbef, v37
	v_mul_f32_e32 v44, 0xbf52af12, v30
	v_add_f32_e32 v41, v41, v45
	v_mul_f32_e32 v45, 0x3e750f2a, v31
	v_add_f32_e32 v42, v42, v46
	v_add_f32_e32 v43, v43, v47
	v_mov_b32_e32 v46, v44
	v_fma_f32 v44, v37, s5, -v44
	v_fma_f32 v47, v36, s20, -v45
	v_fmac_f32_e32 v45, 0xbf788fa5, v36
	v_fmac_f32_e32 v46, 0x3f116cb1, v37
	v_add_f32_e32 v44, v44, v52
	v_mul_f32_e32 v52, 0x3e750f2a, v30
	v_add_f32_e32 v45, v45, v53
	v_mul_f32_e32 v53, 0x3eedf032, v31
	v_add_f32_e32 v46, v46, v55
	v_add_f32_e32 v47, v47, v56
	v_mov_b32_e32 v55, v52
	v_fma_f32 v52, v37, s20, -v52
	v_fma_f32 v56, v36, s4, -v53
	v_fmac_f32_e32 v53, 0x3f62ad3f, v36
	v_mul_f32_e32 v31, 0xbf6f5d39, v31
	v_add_f32_e32 v52, v52, v57
	v_mul_f32_e32 v57, 0x3eedf032, v30
	v_add_f32_e32 v53, v53, v59
	v_fma_f32 v59, v36, s18, -v31
	v_mul_f32_e32 v30, 0xbf6f5d39, v30
	v_fmac_f32_e32 v31, 0xbeb58ec6, v36
	v_add_f32_e32 v56, v56, v60
	v_mov_b32_e32 v60, v30
	v_add_f32_e32 v29, v31, v29
	v_fma_f32 v30, v37, s18, -v30
	v_add_f32_e32 v31, v27, v25
	v_sub_f32_e32 v25, v25, v27
	v_add_f32_e32 v69, v69, v73
	v_add_f32_e32 v28, v30, v28
	;; [unrolled: 1-line block ×3, first 2 shown]
	v_sub_f32_e32 v24, v24, v26
	v_mul_f32_e32 v26, 0xbe750f2a, v25
	v_add_f32_e32 v71, v71, v75
	v_add_f32_e32 v65, v65, v69
	v_fma_f32 v27, v30, s20, -v26
	v_add_f32_e32 v72, v72, v76
	v_add_f32_e32 v67, v67, v71
	;; [unrolled: 1-line block ×4, first 2 shown]
	v_mul_f32_e32 v27, 0xbe750f2a, v24
	v_fmac_f32_e32 v26, 0xbf788fa5, v30
	v_add_f32_e32 v68, v68, v72
	v_add_f32_e32 v63, v63, v67
	;; [unrolled: 1-line block ×3, first 2 shown]
	v_fma_f32 v26, v31, s20, -v27
	v_add_f32_e32 v64, v64, v68
	v_add_f32_e32 v68, v26, v34
	v_mul_f32_e32 v26, 0x3eedf032, v25
	v_mov_b32_e32 v33, v27
	v_fma_f32 v27, v30, s4, -v26
	v_add_f32_e32 v69, v27, v39
	v_mul_f32_e32 v27, 0x3eedf032, v24
	v_fmac_f32_e32 v26, 0x3f62ad3f, v30
	v_add_f32_e32 v71, v26, v35
	v_fma_f32 v26, v31, s4, -v27
	v_add_f32_e32 v72, v26, v40
	v_mul_f32_e32 v26, 0xbf29c268, v25
	v_mov_b32_e32 v32, v27
	v_fma_f32 v27, v30, s19, -v26
	v_add_f32_e32 v73, v27, v43
	v_mul_f32_e32 v27, 0xbf29c268, v24
	v_fmac_f32_e32 v26, 0xbf3f9e67, v30
	v_add_f32_e32 v75, v26, v41
	v_fma_f32 v26, v31, s19, -v27
	v_add_f32_e32 v70, v70, v74
	v_fmac_f32_e32 v32, 0x3f62ad3f, v31
	v_add_f32_e32 v76, v26, v44
	v_mul_f32_e32 v26, 0x3f52af12, v25
	v_add_f32_e32 v66, v66, v70
	v_add_f32_e32 v70, v32, v42
	v_mov_b32_e32 v32, v27
	v_fma_f32 v27, v30, s5, -v26
	v_add_f32_e32 v77, v27, v47
	v_mul_f32_e32 v27, 0x3f52af12, v24
	v_fmac_f32_e32 v26, 0x3f116cb1, v30
	v_add_f32_e32 v79, v26, v45
	v_fma_f32 v26, v31, s5, -v27
	v_fmac_f32_e32 v32, 0xbf3f9e67, v31
	v_add_f32_e32 v80, v26, v52
	v_mul_f32_e32 v26, 0xbf6f5d39, v25
	v_fmac_f32_e32 v55, 0xbf788fa5, v37
	v_add_f32_e32 v74, v32, v46
	v_mov_b32_e32 v32, v27
	v_fma_f32 v27, v30, s18, -v26
	v_add_f32_e32 v55, v55, v58
	v_mov_b32_e32 v58, v57
	v_fma_f32 v57, v37, s4, -v57
	v_add_f32_e32 v81, v27, v56
	v_mul_f32_e32 v27, 0xbf6f5d39, v24
	v_fmac_f32_e32 v26, 0xbeb58ec6, v30
	v_add_f32_e32 v57, v57, v61
	v_add_f32_e32 v83, v26, v53
	v_fma_f32 v26, v31, s18, -v27
	v_mul_f32_e32 v25, 0x3f7e222b, v25
	v_add_f32_e32 v59, v59, v63
	v_add_f32_e32 v84, v26, v57
	v_fma_f32 v26, v30, s16, -v25
	v_mul_f32_e32 v24, 0x3f7e222b, v24
	v_sub_f32_e32 v42, v3, v49
	v_fmac_f32_e32 v60, 0xbeb58ec6, v37
	v_fmac_f32_e32 v32, 0x3f116cb1, v31
	v_add_f32_e32 v85, v26, v59
	v_mov_b32_e32 v26, v24
	v_fmac_f32_e32 v25, 0x3df6dbef, v30
	v_fma_f32 v24, v31, s16, -v24
	v_mul_f32_e32 v36, 0xbeedf032, v42
	v_add_f32_e32 v60, v60, v64
	v_fmac_f32_e32 v33, 0xbf788fa5, v31
	v_add_f32_e32 v78, v32, v55
	v_fmac_f32_e32 v26, 0x3df6dbef, v31
	v_add_f32_e32 v87, v25, v29
	v_add_f32_e32 v88, v24, v28
	;; [unrolled: 1-line block ×3, first 2 shown]
	v_sub_f32_e32 v55, v2, v48
	v_mov_b32_e32 v25, v36
	v_add_f32_e32 v62, v62, v66
	v_fmac_f32_e32 v58, 0x3f62ad3f, v37
	v_add_f32_e32 v66, v33, v38
	v_mov_b32_e32 v32, v27
	v_add_f32_e32 v86, v26, v60
	v_add_f32_e32 v26, v49, v3
	v_mul_f32_e32 v38, 0xbeedf032, v55
	v_fmac_f32_e32 v25, 0x3f62ad3f, v24
	v_sub_f32_e32 v45, v9, v23
	v_add_f32_e32 v58, v58, v62
	v_fmac_f32_e32 v32, 0xbeb58ec6, v31
	v_add_f32_e32 v27, v25, v0
	v_fma_f32 v25, v26, s4, -v38
	v_mul_f32_e32 v37, 0xbf52af12, v45
	v_add_f32_e32 v82, v32, v58
	v_add_f32_e32 v29, v25, v1
	;; [unrolled: 1-line block ×3, first 2 shown]
	v_sub_f32_e32 v58, v8, v22
	v_mov_b32_e32 v30, v37
	v_add_f32_e32 v28, v23, v9
	v_mul_f32_e32 v40, 0xbf52af12, v58
	v_fmac_f32_e32 v30, 0x3f116cb1, v25
	v_sub_f32_e32 v47, v11, v21
	v_add_f32_e32 v31, v30, v27
	v_fma_f32 v27, v28, s5, -v40
	v_mul_f32_e32 v39, 0xbf7e222b, v47
	v_add_f32_e32 v29, v27, v29
	v_add_f32_e32 v27, v20, v10
	v_sub_f32_e32 v60, v10, v20
	v_mov_b32_e32 v32, v39
	v_add_f32_e32 v30, v21, v11
	v_mul_f32_e32 v43, 0xbf7e222b, v60
	v_fmac_f32_e32 v32, 0x3df6dbef, v27
	v_sub_f32_e32 v56, v13, v19
	v_add_f32_e32 v31, v32, v31
	v_fma_f32 v32, v30, s16, -v43
	v_mul_f32_e32 v41, 0xbf6f5d39, v56
	v_add_f32_e32 v32, v32, v29
	v_add_f32_e32 v29, v18, v12
	;; [unrolled: 11-line block ×4, first 2 shown]
	v_sub_f32_e32 v64, v4, v6
	v_mov_b32_e32 v91, v52
	v_add_f32_e32 v35, v7, v5
	v_mul_f32_e32 v57, 0xbe750f2a, v64
	v_fmac_f32_e32 v91, 0xbf788fa5, v32
	v_add_f32_e32 v124, v91, v89
	v_fma_f32 v89, v35, s20, -v57
	v_add_co_u32_e32 v136, vcc, 39, v185
	v_add_f32_e32 v125, v89, v90
	v_mul_lo_u16_e32 v89, 13, v185
	v_addc_co_u32_e64 v54, s[2:3], 0, 0, vcc
	v_lshl_add_u32 v182, v89, 3, v171
	v_mul_u32_u24_e32 v173, 13, v136
	s_barrier
	ds_write2_b64 v182, v[50:51], v[65:66] offset1:1
	ds_write2_b64 v182, v[69:70], v[73:74] offset0:2 offset1:3
	ds_write2_b64 v182, v[77:78], v[81:82] offset0:4 offset1:5
	;; [unrolled: 1-line block ×5, first 2 shown]
	ds_write_b64 v182, v[67:68] offset:96
	s_and_saveexec_b64 s[2:3], s[0:1]
	s_cbranch_execz .LBB0_7
; %bb.6:
	v_mul_f32_e32 v83, 0xbe750f2a, v55
	v_mov_b32_e32 v50, v83
	v_mul_f32_e32 v84, 0x3eedf032, v58
	v_fmac_f32_e32 v50, 0xbf788fa5, v26
	v_mov_b32_e32 v51, v84
	v_add_f32_e32 v50, v50, v1
	v_fmac_f32_e32 v51, 0x3f62ad3f, v28
	v_mul_f32_e32 v85, 0xbf29c268, v60
	v_add_f32_e32 v50, v51, v50
	v_mov_b32_e32 v51, v85
	v_fmac_f32_e32 v51, 0xbf3f9e67, v30
	v_mul_f32_e32 v86, 0x3f52af12, v62
	v_add_f32_e32 v50, v51, v50
	v_mov_b32_e32 v51, v86
	v_fmac_f32_e32 v51, 0x3f116cb1, v33
	v_mul_f32_e32 v87, 0xbf6f5d39, v63
	v_add_f32_e32 v50, v51, v50
	v_mov_b32_e32 v51, v87
	v_fmac_f32_e32 v51, 0xbeb58ec6, v34
	v_mul_f32_e32 v88, 0x3f7e222b, v64
	v_add_f32_e32 v50, v51, v50
	v_mov_b32_e32 v51, v88
	v_fmac_f32_e32 v51, 0x3df6dbef, v35
	v_mul_f32_e32 v89, 0xbe750f2a, v42
	v_add_f32_e32 v51, v51, v50
	v_fma_f32 v50, v24, s20, -v89
	v_mul_f32_e32 v90, 0x3eedf032, v45
	v_add_f32_e32 v50, v50, v0
	v_fma_f32 v65, v25, s4, -v90
	v_mul_f32_e32 v91, 0xbf29c268, v47
	v_add_f32_e32 v50, v65, v50
	v_fma_f32 v65, v27, s19, -v91
	v_mul_f32_e32 v92, 0x3f52af12, v56
	v_add_f32_e32 v50, v65, v50
	v_fma_f32 v65, v29, s5, -v92
	v_mul_f32_e32 v93, 0xbf6f5d39, v59
	v_add_f32_e32 v50, v65, v50
	v_fma_f32 v65, v31, s18, -v93
	v_mul_f32_e32 v94, 0x3f7e222b, v61
	v_add_f32_e32 v50, v65, v50
	v_fma_f32 v65, v32, s16, -v94
	v_mul_f32_e32 v95, 0xbf29c268, v55
	v_add_f32_e32 v50, v65, v50
	v_mov_b32_e32 v65, v95
	v_mul_f32_e32 v96, 0x3f7e222b, v58
	v_fmac_f32_e32 v65, 0xbf3f9e67, v26
	v_mov_b32_e32 v66, v96
	v_add_f32_e32 v65, v65, v1
	v_fmac_f32_e32 v66, 0x3df6dbef, v28
	v_mul_f32_e32 v97, 0xbf52af12, v60
	v_add_f32_e32 v65, v66, v65
	v_mov_b32_e32 v66, v97
	v_fmac_f32_e32 v66, 0x3f116cb1, v30
	v_mul_f32_e32 v98, 0x3e750f2a, v62
	v_add_f32_e32 v65, v66, v65
	v_mov_b32_e32 v66, v98
	v_fmac_f32_e32 v66, 0xbf788fa5, v33
	v_mul_f32_e32 v99, 0x3eedf032, v63
	v_add_f32_e32 v65, v66, v65
	v_mov_b32_e32 v66, v99
	v_fmac_f32_e32 v66, 0x3f62ad3f, v34
	v_mul_f32_e32 v100, 0xbf6f5d39, v64
	v_add_f32_e32 v65, v66, v65
	v_mov_b32_e32 v66, v100
	v_fmac_f32_e32 v66, 0xbeb58ec6, v35
	v_mul_f32_e32 v101, 0xbf29c268, v42
	v_add_f32_e32 v66, v66, v65
	v_fma_f32 v65, v24, s19, -v101
	v_mul_f32_e32 v102, 0x3f7e222b, v45
	v_add_f32_e32 v65, v65, v0
	v_fma_f32 v67, v25, s16, -v102
	v_mul_f32_e32 v103, 0xbf52af12, v47
	v_add_f32_e32 v65, v67, v65
	v_fma_f32 v67, v27, s5, -v103
	v_mul_f32_e32 v104, 0x3e750f2a, v56
	v_add_f32_e32 v65, v67, v65
	v_fma_f32 v67, v29, s20, -v104
	v_mul_f32_e32 v105, 0x3eedf032, v59
	v_add_f32_e32 v65, v67, v65
	v_fma_f32 v67, v31, s4, -v105
	v_mul_f32_e32 v106, 0xbf6f5d39, v61
	v_add_f32_e32 v65, v67, v65
	v_fma_f32 v67, v32, s18, -v106
	v_mul_f32_e32 v107, 0xbf6f5d39, v55
	v_add_f32_e32 v65, v67, v65
	;; [unrolled: 42-line block ×3, first 2 shown]
	v_mov_b32_e32 v69, v119
	v_mul_f32_e32 v120, 0xbe750f2a, v58
	v_fmac_f32_e32 v69, 0x3df6dbef, v26
	v_mov_b32_e32 v70, v120
	v_add_f32_e32 v69, v69, v1
	v_fmac_f32_e32 v70, 0xbf788fa5, v28
	v_mul_f32_e32 v121, 0x3f6f5d39, v60
	v_add_f32_e32 v69, v70, v69
	v_mov_b32_e32 v70, v121
	v_fmac_f32_e32 v70, 0xbeb58ec6, v30
	v_mul_f32_e32 v122, 0x3eedf032, v62
	v_add_f32_e32 v69, v70, v69
	v_mov_b32_e32 v70, v122
	;; [unrolled: 4-line block ×4, first 2 shown]
	v_fmac_f32_e32 v70, 0xbf3f9e67, v35
	v_mul_f32_e32 v127, 0xbf7e222b, v42
	v_add_f32_e32 v70, v70, v69
	v_fma_f32 v69, v24, s16, -v127
	v_mul_f32_e32 v128, 0xbe750f2a, v45
	v_add_f32_e32 v69, v69, v0
	v_fma_f32 v129, v25, s20, -v128
	v_add_f32_e32 v69, v129, v69
	v_mul_f32_e32 v129, 0x3f6f5d39, v47
	v_fma_f32 v130, v27, s18, -v129
	v_add_f32_e32 v69, v130, v69
	v_mul_f32_e32 v130, 0x3eedf032, v56
	v_fma_f32 v131, v29, s4, -v130
	v_add_f32_e32 v69, v131, v69
	v_mul_f32_e32 v131, 0xbf52af12, v59
	v_fma_f32 v132, v31, s5, -v131
	v_add_f32_e32 v69, v132, v69
	v_mul_f32_e32 v132, 0xbf29c268, v61
	v_fma_f32 v133, v32, s19, -v132
	v_mul_f32_e32 v55, 0xbf52af12, v55
	v_add_f32_e32 v69, v133, v69
	v_mov_b32_e32 v133, v55
	v_mul_f32_e32 v58, 0xbf6f5d39, v58
	v_fmac_f32_e32 v133, 0x3f116cb1, v26
	v_mov_b32_e32 v134, v58
	v_add_f32_e32 v133, v133, v1
	v_fmac_f32_e32 v134, 0xbeb58ec6, v28
	v_add_f32_e32 v2, v2, v0
	v_add_f32_e32 v133, v134, v133
	v_mul_f32_e32 v134, 0xbe750f2a, v60
	v_add_f32_e32 v3, v3, v1
	v_add_f32_e32 v2, v8, v2
	v_mov_b32_e32 v60, v134
	v_add_f32_e32 v3, v9, v3
	v_add_f32_e32 v2, v10, v2
	v_fmac_f32_e32 v60, 0xbf788fa5, v30
	v_mul_f32_e32 v62, 0x3f29c268, v62
	v_add_f32_e32 v3, v11, v3
	v_add_f32_e32 v2, v12, v2
	;; [unrolled: 1-line block ×3, first 2 shown]
	v_mov_b32_e32 v133, v62
	v_add_f32_e32 v3, v13, v3
	v_add_f32_e32 v2, v14, v2
	v_fmac_f32_e32 v133, 0xbf3f9e67, v33
	v_mul_f32_e32 v63, 0x3f7e222b, v63
	v_add_f32_e32 v3, v15, v3
	v_add_f32_e32 v2, v4, v2
	;; [unrolled: 1-line block ×3, first 2 shown]
	v_mov_b32_e32 v133, v63
	v_add_f32_e32 v3, v5, v3
	v_add_f32_e32 v2, v6, v2
	v_fma_f32 v4, v26, s20, -v83
	v_fma_f32 v6, v26, s19, -v95
	;; [unrolled: 1-line block ×4, first 2 shown]
	v_fmac_f32_e32 v133, 0x3df6dbef, v34
	v_mul_f32_e32 v64, 0x3eedf032, v64
	v_add_f32_e32 v3, v7, v3
	v_add_f32_e32 v4, v4, v1
	v_fma_f32 v5, v28, s4, -v84
	v_add_f32_e32 v6, v6, v1
	v_fma_f32 v7, v28, s16, -v96
	;; [unrolled: 2-line block ×4, first 2 shown]
	v_add_f32_e32 v60, v133, v60
	v_mov_b32_e32 v133, v64
	v_add_f32_e32 v4, v5, v4
	v_fma_f32 v5, v30, s19, -v85
	v_add_f32_e32 v6, v7, v6
	v_fma_f32 v7, v30, s5, -v97
	;; [unrolled: 2-line block ×4, first 2 shown]
	v_mul_f32_e32 v71, 0x3f62ad3f, v24
	v_mul_f32_e32 v72, 0x3f62ad3f, v26
	v_fmac_f32_e32 v133, 0x3f62ad3f, v35
	v_mul_f32_e32 v42, 0xbf52af12, v42
	v_add_f32_e32 v4, v5, v4
	v_fma_f32 v5, v33, s5, -v86
	v_add_f32_e32 v6, v7, v6
	v_fma_f32 v7, v33, s20, -v98
	;; [unrolled: 2-line block ×4, first 2 shown]
	v_mul_f32_e32 v73, 0x3f116cb1, v25
	v_mul_f32_e32 v74, 0x3f116cb1, v28
	v_add_f32_e32 v60, v133, v60
	v_fma_f32 v133, v24, s5, -v42
	v_mul_f32_e32 v45, 0xbf6f5d39, v45
	v_add_f32_e32 v38, v38, v72
	v_sub_f32_e32 v36, v71, v36
	v_add_f32_e32 v4, v5, v4
	v_fma_f32 v5, v34, s18, -v87
	v_add_f32_e32 v6, v7, v6
	v_fma_f32 v7, v34, s4, -v99
	;; [unrolled: 2-line block ×4, first 2 shown]
	v_fma_f32 v12, v26, s5, -v55
	v_mul_f32_e32 v75, 0x3df6dbef, v27
	v_mul_f32_e32 v76, 0x3df6dbef, v30
	v_add_f32_e32 v133, v133, v0
	v_fma_f32 v135, v25, s18, -v45
	v_mul_f32_e32 v47, 0xbe750f2a, v47
	v_add_f32_e32 v38, v38, v1
	v_add_f32_e32 v40, v40, v74
	;; [unrolled: 1-line block ×3, first 2 shown]
	v_sub_f32_e32 v37, v73, v37
	v_add_f32_e32 v4, v5, v4
	v_fma_f32 v5, v35, s16, -v88
	v_fmac_f32_e32 v89, 0xbf788fa5, v24
	v_add_f32_e32 v6, v7, v6
	v_fma_f32 v7, v35, s18, -v100
	v_fmac_f32_e32 v101, 0xbf3f9e67, v24
	;; [unrolled: 3-line block ×5, first 2 shown]
	v_mul_f32_e32 v77, 0xbeb58ec6, v29
	v_mul_f32_e32 v78, 0xbeb58ec6, v33
	v_add_f32_e32 v133, v135, v133
	v_fma_f32 v135, v27, s20, -v47
	v_mul_f32_e32 v56, 0x3f29c268, v56
	v_add_f32_e32 v38, v40, v38
	v_add_f32_e32 v40, v43, v76
	v_add_f32_e32 v36, v37, v36
	v_sub_f32_e32 v37, v75, v39
	v_add_f32_e32 v3, v17, v3
	v_add_f32_e32 v2, v16, v2
	;; [unrolled: 1-line block ×4, first 2 shown]
	v_fmac_f32_e32 v90, 0x3f62ad3f, v25
	v_add_f32_e32 v7, v7, v6
	v_add_f32_e32 v6, v101, v0
	v_fmac_f32_e32 v102, 0x3df6dbef, v25
	v_add_f32_e32 v9, v9, v8
	v_add_f32_e32 v8, v113, v0
	;; [unrolled: 3-line block ×3, first 2 shown]
	v_fmac_f32_e32 v128, 0xbf788fa5, v25
	v_add_f32_e32 v1, v12, v1
	v_fma_f32 v12, v30, s20, -v134
	v_add_f32_e32 v0, v42, v0
	v_fmac_f32_e32 v45, 0xbeb58ec6, v25
	v_mul_f32_e32 v79, 0xbf3f9e67, v31
	v_mul_f32_e32 v80, 0xbf3f9e67, v34
	v_add_f32_e32 v133, v135, v133
	v_fma_f32 v135, v29, s19, -v56
	v_add_f32_e32 v38, v40, v38
	v_add_f32_e32 v40, v46, v78
	;; [unrolled: 1-line block ×3, first 2 shown]
	v_sub_f32_e32 v37, v77, v41
	v_add_f32_e32 v3, v19, v3
	v_add_f32_e32 v2, v18, v2
	;; [unrolled: 1-line block ×3, first 2 shown]
	v_fmac_f32_e32 v91, 0xbf3f9e67, v27
	v_add_f32_e32 v6, v102, v6
	v_fmac_f32_e32 v103, 0x3f116cb1, v27
	v_add_f32_e32 v8, v114, v8
	;; [unrolled: 2-line block ×4, first 2 shown]
	v_fma_f32 v12, v33, s19, -v62
	v_add_f32_e32 v0, v45, v0
	v_fmac_f32_e32 v47, 0xbf788fa5, v27
	v_mul_f32_e32 v81, 0xbf788fa5, v32
	v_mul_f32_e32 v82, 0xbf788fa5, v35
	v_add_f32_e32 v133, v135, v133
	v_mul_f32_e32 v135, 0x3f7e222b, v59
	v_add_f32_e32 v38, v40, v38
	v_add_f32_e32 v40, v53, v80
	;; [unrolled: 1-line block ×3, first 2 shown]
	v_sub_f32_e32 v37, v79, v44
	v_add_f32_e32 v3, v21, v3
	v_add_f32_e32 v2, v20, v2
	;; [unrolled: 1-line block ×3, first 2 shown]
	v_fmac_f32_e32 v92, 0x3f116cb1, v29
	v_add_f32_e32 v6, v103, v6
	v_fmac_f32_e32 v104, 0xbf788fa5, v29
	v_add_f32_e32 v8, v115, v8
	;; [unrolled: 2-line block ×4, first 2 shown]
	v_fma_f32 v12, v34, s16, -v63
	v_add_f32_e32 v0, v47, v0
	v_fmac_f32_e32 v56, 0xbf3f9e67, v29
	v_fma_f32 v59, v31, s16, -v135
	v_mul_f32_e32 v61, 0x3eedf032, v61
	v_add_f32_e32 v38, v40, v38
	v_add_f32_e32 v40, v57, v82
	;; [unrolled: 1-line block ×3, first 2 shown]
	v_sub_f32_e32 v37, v81, v52
	v_add_f32_e32 v3, v23, v3
	v_add_f32_e32 v2, v22, v2
	;; [unrolled: 1-line block ×3, first 2 shown]
	v_fmac_f32_e32 v93, 0xbeb58ec6, v31
	v_add_f32_e32 v6, v104, v6
	v_fmac_f32_e32 v105, 0x3f62ad3f, v31
	v_add_f32_e32 v8, v116, v8
	;; [unrolled: 2-line block ×4, first 2 shown]
	v_fma_f32 v12, v35, s4, -v64
	v_add_f32_e32 v0, v56, v0
	v_fmac_f32_e32 v135, 0x3df6dbef, v31
	v_add_f32_e32 v59, v59, v133
	v_fma_f32 v133, v32, s4, -v61
	v_add_f32_e32 v38, v40, v38
	v_add_f32_e32 v37, v37, v36
	;; [unrolled: 1-line block ×5, first 2 shown]
	v_fmac_f32_e32 v94, 0x3df6dbef, v32
	v_add_f32_e32 v6, v105, v6
	v_fmac_f32_e32 v106, 0xbeb58ec6, v32
	v_add_f32_e32 v8, v117, v8
	;; [unrolled: 2-line block ×4, first 2 shown]
	v_add_f32_e32 v0, v135, v0
	v_fmac_f32_e32 v61, 0x3f62ad3f, v32
	v_lshl_add_u32 v12, v173, 3, v171
	v_add_f32_e32 v59, v133, v59
	v_add_f32_e32 v4, v94, v4
	;; [unrolled: 1-line block ×6, first 2 shown]
	ds_write2_b64 v12, v[2:3], v[37:38] offset1:1
	ds_write2_b64 v12, v[59:60], v[69:70] offset0:2 offset1:3
	ds_write2_b64 v12, v[67:68], v[65:66] offset0:4 offset1:5
	;; [unrolled: 1-line block ×5, first 2 shown]
	ds_write_b64 v12, v[124:125] offset:96
.LBB0_7:
	s_or_b64 exec, exec, s[2:3]
	s_movk_i32 s16, 0x4f
	v_mul_lo_u16_sdwa v0, v185, s16 dst_sel:DWORD dst_unused:UNUSED_PAD src0_sel:BYTE_0 src1_sel:DWORD
	v_lshrrev_b16_e32 v52, 10, v0
	v_mul_lo_u16_e32 v0, 13, v52
	v_sub_u16_e32 v53, v185, v0
	v_mov_b32_e32 v32, 5
	v_lshlrev_b32_sdwa v8, v32, v53 dst_sel:DWORD dst_unused:UNUSED_PAD src0_sel:DWORD src1_sel:BYTE_0
	s_movk_i32 s2, 0x4e
	s_waitcnt lgkmcnt(0)
	s_barrier
	global_load_dwordx4 v[4:7], v8, s[12:13]
	global_load_dwordx4 v[0:3], v8, s[12:13] offset:16
	v_mul_lo_u16_sdwa v8, v136, s16 dst_sel:DWORD dst_unused:UNUSED_PAD src0_sel:BYTE_0 src1_sel:DWORD
	v_add_co_u32_e64 v126, s[4:5], s2, v185
	v_lshrrev_b16_e32 v55, 10, v8
	v_mul_lo_u16_sdwa v16, v126, s16 dst_sel:DWORD dst_unused:UNUSED_PAD src0_sel:BYTE_0 src1_sel:DWORD
	v_mul_lo_u16_e32 v8, 13, v55
	v_lshrrev_b16_e32 v59, 10, v16
	v_sub_u16_e32 v56, v136, v8
	v_mul_lo_u16_e32 v16, 13, v59
	v_lshlrev_b32_sdwa v8, v32, v56 dst_sel:DWORD dst_unused:UNUSED_PAD src0_sel:DWORD src1_sel:BYTE_0
	v_sub_u16_e32 v60, v126, v16
	s_movk_i32 s2, 0x75
	global_load_dwordx4 v[12:15], v8, s[12:13]
	v_lshlrev_b32_sdwa v16, v32, v60 dst_sel:DWORD dst_unused:UNUSED_PAD src0_sel:DWORD src1_sel:BYTE_0
	global_load_dwordx4 v[24:27], v16, s[12:13]
	v_add_co_u32_e32 v128, vcc, s2, v185
	global_load_dwordx4 v[8:11], v8, s[12:13] offset:16
	v_mul_lo_u16_sdwa v20, v128, s16 dst_sel:DWORD dst_unused:UNUSED_PAD src0_sel:BYTE_0 src1_sel:DWORD
	global_load_dwordx4 v[16:19], v16, s[12:13] offset:16
	v_lshrrev_b16_e32 v62, 10, v20
	v_mul_lo_u16_e32 v20, 13, v62
	v_sub_u16_e32 v63, v128, v20
	s_movk_i32 s2, 0x9c
	v_lshlrev_b32_sdwa v33, v32, v63 dst_sel:DWORD dst_unused:UNUSED_PAD src0_sel:DWORD src1_sel:BYTE_0
	v_add_co_u32_e64 v134, s[2:3], s2, v185
	global_load_dwordx4 v[28:31], v33, s[12:13]
	ds_read2_b64 v[44:47], v205 offset1:39
	ds_read2_b64 v[20:23], v205 offset0:156 offset1:195
	global_load_dwordx4 v[40:43], v33, s[12:13] offset:16
	v_mul_lo_u16_sdwa v33, v134, s16 dst_sel:DWORD dst_unused:UNUSED_PAD src0_sel:BYTE_0 src1_sel:DWORD
	v_lshrrev_b16_e32 v64, 10, v33
	v_mul_lo_u16_e32 v33, 13, v64
	v_sub_u16_e32 v65, v134, v33
	v_lshlrev_b32_sdwa v32, v32, v65 dst_sel:DWORD dst_unused:UNUSED_PAD src0_sel:DWORD src1_sel:BYTE_0
	global_load_dwordx4 v[36:39], v32, s[12:13]
	v_add_u32_e32 v61, 0x800, v205
	v_add_u32_e32 v58, 0x1000, v205
	v_add_u32_e32 v57, 0x1800, v205
	v_add_u32_e32 v137, 0x400, v205
	ds_read2_b64 v[48:51], v205 offset0:78 offset1:117
	ds_read_b64 v[102:103], v205 offset:7488
	ds_read2_b64 v[66:69], v61 offset0:134 offset1:173
	ds_read2_b64 v[70:73], v58 offset0:34 offset1:73
	;; [unrolled: 1-line block ×4, first 2 shown]
	global_load_dwordx4 v[32:35], v32, s[12:13] offset:16
	ds_read2_b64 v[82:85], v58 offset0:112 offset1:151
	ds_read2_b64 v[86:89], v61 offset0:212 offset1:251
	;; [unrolled: 1-line block ×5, first 2 shown]
	v_mul_u32_u24_e32 v52, 0x41, v52
	v_add_u32_sdwa v52, v52, v53 dst_sel:DWORD dst_unused:UNUSED_PAD src0_sel:DWORD src1_sel:BYTE_0
	v_lshl_add_u32 v174, v52, 3, v171
	s_waitcnt vmcnt(0) lgkmcnt(0)
	s_barrier
	v_addc_co_u32_e64 v127, s[4:5], 0, 0, s[4:5]
	v_mul_f32_e32 v104, v23, v5
	v_mul_f32_e32 v105, v22, v5
	v_fma_f32 v104, v22, v4, -v104
	v_mul_f32_e32 v108, v73, v1
	v_mul_f32_e32 v109, v72, v1
	v_fma_f32 v72, v72, v0, -v108
	v_mul_f32_e32 v106, v67, v7
	v_fma_f32 v106, v66, v6, -v106
	v_mul_f32_e32 v111, v74, v3
	v_fmac_f32_e32 v105, v23, v4
	v_add_f32_e32 v23, v106, v72
	v_mul_f32_e32 v107, v66, v7
	v_mul_f32_e32 v110, v75, v3
	v_fmac_f32_e32 v111, v75, v2
	v_mul_f32_e32 v113, v78, v13
	v_mul_f32_e32 v22, v69, v15
	;; [unrolled: 1-line block ×3, first 2 shown]
	v_fmac_f32_e32 v113, v79, v12
	v_fma_f32 v79, v68, v14, -v22
	v_mul_f32_e32 v22, v83, v9
	v_fma_f32 v108, v78, v12, -v112
	v_fma_f32 v112, v82, v8, -v22
	v_mul_f32_e32 v82, v82, v9
	v_mul_f32_e32 v22, v77, v11
	v_fmac_f32_e32 v82, v83, v8
	v_fma_f32 v83, v76, v10, -v22
	v_mul_f32_e32 v22, v81, v25
	v_fma_f32 v115, v80, v24, -v22
	v_mul_f32_e32 v22, v87, v27
	v_fma_f32 v117, v86, v26, -v22
	v_mul_f32_e32 v118, v86, v27
	v_mul_f32_e32 v22, v85, v17
	v_fmac_f32_e32 v118, v87, v26
	v_fma_f32 v87, v84, v16, -v22
	v_mul_f32_e32 v119, v84, v17
	v_mul_f32_e32 v22, v91, v19
	v_fmac_f32_e32 v119, v85, v16
	v_fma_f32 v85, v90, v18, -v22
	v_mul_f32_e32 v22, v95, v29
	v_fma_f32 v120, v94, v28, -v22
	v_mul_f32_e32 v121, v94, v29
	v_mul_f32_e32 v22, v89, v31
	v_fmac_f32_e32 v121, v95, v28
	v_fma_f32 v95, v88, v30, -v22
	v_mul_f32_e32 v22, v99, v41
	;; [unrolled: 6-line block ×3, first 2 shown]
	v_fma_f32 v66, -0.5, v23, v44
	v_fmac_f32_e32 v107, v67, v6
	v_fmac_f32_e32 v109, v73, v0
	v_fma_f32 v73, v74, v2, -v110
	v_mul_f32_e32 v110, v68, v15
	v_fma_f32 v132, v96, v36, -v22
	v_mul_f32_e32 v22, v71, v39
	v_sub_f32_e32 v23, v105, v111
	v_mov_b32_e32 v68, v66
	v_fmac_f32_e32 v110, v69, v14
	v_fma_f32 v135, v70, v38, -v22
	v_mul_f32_e32 v138, v70, v39
	v_fmac_f32_e32 v68, 0x3f737871, v23
	v_sub_f32_e32 v67, v107, v109
	v_sub_f32_e32 v69, v104, v106
	;; [unrolled: 1-line block ×3, first 2 shown]
	v_fmac_f32_e32 v66, 0xbf737871, v23
	v_mul_f32_e32 v22, v101, v33
	v_fmac_f32_e32 v68, 0x3f167918, v67
	v_add_f32_e32 v69, v69, v70
	v_fmac_f32_e32 v66, 0xbf167918, v67
	v_fma_f32 v139, v100, v32, -v22
	v_mul_f32_e32 v140, v100, v33
	v_mul_f32_e32 v22, v103, v35
	v_fmac_f32_e32 v68, 0x3e9e377a, v69
	v_fmac_f32_e32 v66, 0x3e9e377a, v69
	v_add_f32_e32 v69, v104, v73
	v_fmac_f32_e32 v140, v101, v32
	v_fma_f32 v101, v102, v34, -v22
	v_add_f32_e32 v22, v44, v104
	v_fma_f32 v44, -0.5, v69, v44
	v_mov_b32_e32 v70, v44
	v_fmac_f32_e32 v138, v71, v38
	v_add_f32_e32 v22, v22, v106
	v_fmac_f32_e32 v70, 0xbf737871, v67
	v_sub_f32_e32 v69, v106, v104
	v_sub_f32_e32 v71, v72, v73
	v_fmac_f32_e32 v44, 0x3f737871, v67
	v_add_f32_e32 v67, v107, v109
	v_add_f32_e32 v22, v22, v72
	v_fmac_f32_e32 v70, 0x3f167918, v23
	v_add_f32_e32 v69, v69, v71
	v_fmac_f32_e32 v44, 0xbf167918, v23
	v_fma_f32 v67, -0.5, v67, v45
	v_add_f32_e32 v22, v22, v73
	v_fmac_f32_e32 v70, 0x3e9e377a, v69
	v_fmac_f32_e32 v44, 0x3e9e377a, v69
	v_sub_f32_e32 v73, v104, v73
	v_mov_b32_e32 v69, v67
	v_fmac_f32_e32 v69, 0xbf737871, v73
	v_sub_f32_e32 v72, v106, v72
	v_sub_f32_e32 v71, v105, v107
	;; [unrolled: 1-line block ×3, first 2 shown]
	v_fmac_f32_e32 v67, 0x3f737871, v73
	v_fmac_f32_e32 v69, 0xbf167918, v72
	v_add_f32_e32 v71, v71, v74
	v_fmac_f32_e32 v67, 0x3f167918, v72
	v_fmac_f32_e32 v69, 0x3e9e377a, v71
	;; [unrolled: 1-line block ×3, first 2 shown]
	v_add_f32_e32 v71, v105, v111
	v_add_f32_e32 v23, v45, v105
	v_fma_f32 v45, -0.5, v71, v45
	v_mov_b32_e32 v71, v45
	v_fmac_f32_e32 v71, 0x3f737871, v72
	v_sub_f32_e32 v74, v107, v105
	v_sub_f32_e32 v75, v109, v111
	v_fmac_f32_e32 v45, 0xbf737871, v72
	v_mul_f32_e32 v114, v76, v11
	v_fmac_f32_e32 v71, 0xbf167918, v73
	v_add_f32_e32 v74, v74, v75
	v_fmac_f32_e32 v45, 0x3f167918, v73
	v_add_f32_e32 v73, v79, v112
	v_fmac_f32_e32 v114, v77, v10
	v_fmac_f32_e32 v71, 0x3e9e377a, v74
	;; [unrolled: 1-line block ×3, first 2 shown]
	v_fma_f32 v74, -0.5, v73, v46
	v_sub_f32_e32 v73, v113, v114
	v_mov_b32_e32 v76, v74
	v_fmac_f32_e32 v76, 0x3f737871, v73
	v_sub_f32_e32 v75, v110, v82
	v_sub_f32_e32 v77, v108, v79
	;; [unrolled: 1-line block ×3, first 2 shown]
	v_fmac_f32_e32 v74, 0xbf737871, v73
	v_fmac_f32_e32 v76, 0x3f167918, v75
	v_add_f32_e32 v77, v77, v78
	v_fmac_f32_e32 v74, 0xbf167918, v75
	v_fmac_f32_e32 v76, 0x3e9e377a, v77
	;; [unrolled: 1-line block ×3, first 2 shown]
	v_add_f32_e32 v77, v108, v83
	v_add_f32_e32 v72, v46, v108
	v_fma_f32 v46, -0.5, v77, v46
	v_mov_b32_e32 v78, v46
	v_mul_f32_e32 v116, v80, v25
	v_fmac_f32_e32 v78, 0xbf737871, v75
	v_sub_f32_e32 v77, v79, v108
	v_sub_f32_e32 v80, v112, v83
	v_fmac_f32_e32 v46, 0x3f737871, v75
	v_add_f32_e32 v75, v110, v82
	v_add_f32_e32 v72, v72, v79
	v_fmac_f32_e32 v78, 0x3f167918, v73
	v_add_f32_e32 v77, v77, v80
	v_fmac_f32_e32 v46, 0xbf167918, v73
	v_fma_f32 v75, -0.5, v75, v47
	v_add_f32_e32 v72, v72, v112
	v_fmac_f32_e32 v78, 0x3e9e377a, v77
	v_fmac_f32_e32 v46, 0x3e9e377a, v77
	v_sub_f32_e32 v80, v108, v83
	v_mov_b32_e32 v77, v75
	v_fmac_f32_e32 v116, v81, v24
	v_add_f32_e32 v72, v72, v83
	v_fmac_f32_e32 v77, 0xbf737871, v80
	v_sub_f32_e32 v81, v79, v112
	v_sub_f32_e32 v79, v113, v110
	;; [unrolled: 1-line block ×3, first 2 shown]
	v_fmac_f32_e32 v75, 0x3f737871, v80
	v_fmac_f32_e32 v77, 0xbf167918, v81
	v_add_f32_e32 v79, v79, v83
	v_fmac_f32_e32 v75, 0x3f167918, v81
	v_fmac_f32_e32 v77, 0x3e9e377a, v79
	;; [unrolled: 1-line block ×3, first 2 shown]
	v_add_f32_e32 v79, v113, v114
	v_add_f32_e32 v73, v47, v113
	v_fmac_f32_e32 v47, -0.5, v79
	v_add_f32_e32 v73, v73, v110
	v_mov_b32_e32 v79, v47
	v_add_f32_e32 v73, v73, v82
	v_fmac_f32_e32 v79, 0x3f737871, v81
	v_sub_f32_e32 v83, v110, v113
	v_sub_f32_e32 v82, v82, v114
	v_fmac_f32_e32 v47, 0xbf737871, v81
	v_mul_f32_e32 v90, v90, v19
	v_fmac_f32_e32 v79, 0xbf167918, v80
	v_add_f32_e32 v82, v83, v82
	v_fmac_f32_e32 v47, 0x3f167918, v80
	v_add_f32_e32 v81, v117, v87
	v_fmac_f32_e32 v90, v91, v18
	v_fmac_f32_e32 v79, 0x3e9e377a, v82
	v_fmac_f32_e32 v47, 0x3e9e377a, v82
	v_fma_f32 v82, -0.5, v81, v48
	v_sub_f32_e32 v81, v116, v90
	v_mov_b32_e32 v84, v82
	v_mul_f32_e32 v122, v88, v31
	v_fmac_f32_e32 v84, 0x3f737871, v81
	v_sub_f32_e32 v83, v118, v119
	v_sub_f32_e32 v86, v115, v117
	;; [unrolled: 1-line block ×3, first 2 shown]
	v_fmac_f32_e32 v82, 0xbf737871, v81
	v_fmac_f32_e32 v84, 0x3f167918, v83
	v_add_f32_e32 v86, v86, v88
	v_fmac_f32_e32 v82, 0xbf167918, v83
	v_fmac_f32_e32 v84, 0x3e9e377a, v86
	;; [unrolled: 1-line block ×3, first 2 shown]
	v_add_f32_e32 v86, v115, v85
	v_add_f32_e32 v80, v48, v115
	v_fma_f32 v48, -0.5, v86, v48
	v_mov_b32_e32 v86, v48
	v_fmac_f32_e32 v122, v89, v30
	v_add_f32_e32 v80, v80, v117
	v_fmac_f32_e32 v86, 0xbf737871, v83
	v_sub_f32_e32 v88, v117, v115
	v_sub_f32_e32 v89, v87, v85
	v_fmac_f32_e32 v48, 0x3f737871, v83
	v_add_f32_e32 v83, v118, v119
	v_add_f32_e32 v80, v80, v87
	v_fmac_f32_e32 v86, 0x3f167918, v81
	v_add_f32_e32 v88, v88, v89
	v_fmac_f32_e32 v48, 0xbf167918, v81
	v_fma_f32 v83, -0.5, v83, v49
	v_add_f32_e32 v80, v80, v85
	v_fmac_f32_e32 v86, 0x3e9e377a, v88
	v_fmac_f32_e32 v48, 0x3e9e377a, v88
	v_sub_f32_e32 v88, v115, v85
	v_mov_b32_e32 v85, v83
	v_fmac_f32_e32 v85, 0xbf737871, v88
	v_sub_f32_e32 v89, v117, v87
	v_sub_f32_e32 v87, v116, v118
	;; [unrolled: 1-line block ×3, first 2 shown]
	v_fmac_f32_e32 v83, 0x3f737871, v88
	v_fmac_f32_e32 v85, 0xbf167918, v89
	v_add_f32_e32 v87, v87, v91
	v_fmac_f32_e32 v83, 0x3f167918, v89
	v_add_f32_e32 v81, v49, v116
	v_fmac_f32_e32 v85, 0x3e9e377a, v87
	v_fmac_f32_e32 v83, 0x3e9e377a, v87
	v_add_f32_e32 v87, v116, v90
	v_add_f32_e32 v81, v81, v118
	v_fma_f32 v49, -0.5, v87, v49
	v_add_f32_e32 v81, v81, v119
	v_mov_b32_e32 v87, v49
	v_add_f32_e32 v81, v81, v90
	v_fmac_f32_e32 v87, 0x3f737871, v89
	v_sub_f32_e32 v91, v118, v116
	v_sub_f32_e32 v90, v119, v90
	v_fmac_f32_e32 v49, 0xbf737871, v89
	v_mul_f32_e32 v129, v92, v43
	v_fmac_f32_e32 v87, 0xbf167918, v88
	v_add_f32_e32 v90, v91, v90
	v_fmac_f32_e32 v49, 0x3f167918, v88
	v_add_f32_e32 v89, v95, v123
	v_fmac_f32_e32 v129, v93, v42
	v_fmac_f32_e32 v87, 0x3e9e377a, v90
	;; [unrolled: 1-line block ×3, first 2 shown]
	v_fma_f32 v90, -0.5, v89, v50
	v_sub_f32_e32 v89, v121, v129
	v_mov_b32_e32 v92, v90
	v_fmac_f32_e32 v92, 0x3f737871, v89
	v_sub_f32_e32 v91, v122, v98
	v_sub_f32_e32 v93, v120, v95
	;; [unrolled: 1-line block ×3, first 2 shown]
	v_fmac_f32_e32 v90, 0xbf737871, v89
	v_fmac_f32_e32 v92, 0x3f167918, v91
	v_add_f32_e32 v93, v93, v94
	v_fmac_f32_e32 v90, 0xbf167918, v91
	v_fmac_f32_e32 v92, 0x3e9e377a, v93
	;; [unrolled: 1-line block ×3, first 2 shown]
	v_add_f32_e32 v93, v120, v99
	v_add_f32_e32 v88, v50, v120
	v_fma_f32 v50, -0.5, v93, v50
	v_mov_b32_e32 v94, v50
	v_mul_f32_e32 v133, v96, v37
	v_fmac_f32_e32 v94, 0xbf737871, v91
	v_sub_f32_e32 v93, v95, v120
	v_sub_f32_e32 v96, v123, v99
	v_fmac_f32_e32 v50, 0x3f737871, v91
	v_add_f32_e32 v91, v122, v98
	v_add_f32_e32 v88, v88, v95
	v_fmac_f32_e32 v94, 0x3f167918, v89
	v_add_f32_e32 v93, v93, v96
	v_fmac_f32_e32 v50, 0xbf167918, v89
	v_fma_f32 v91, -0.5, v91, v51
	v_add_f32_e32 v88, v88, v123
	v_fmac_f32_e32 v94, 0x3e9e377a, v93
	v_fmac_f32_e32 v50, 0x3e9e377a, v93
	v_sub_f32_e32 v96, v120, v99
	v_mov_b32_e32 v93, v91
	v_fmac_f32_e32 v133, v97, v36
	v_add_f32_e32 v88, v88, v99
	v_fmac_f32_e32 v93, 0xbf737871, v96
	v_sub_f32_e32 v97, v95, v123
	v_sub_f32_e32 v95, v121, v122
	v_sub_f32_e32 v99, v129, v98
	v_fmac_f32_e32 v91, 0x3f737871, v96
	v_fmac_f32_e32 v93, 0xbf167918, v97
	v_add_f32_e32 v95, v95, v99
	v_fmac_f32_e32 v91, 0x3f167918, v97
	v_fmac_f32_e32 v93, 0x3e9e377a, v95
	;; [unrolled: 1-line block ×3, first 2 shown]
	v_add_f32_e32 v95, v121, v129
	v_add_f32_e32 v89, v51, v121
	v_fmac_f32_e32 v51, -0.5, v95
	v_add_f32_e32 v89, v89, v122
	v_mov_b32_e32 v95, v51
	v_mul_f32_e32 v102, v102, v35
	v_add_f32_e32 v89, v89, v98
	v_fmac_f32_e32 v95, 0x3f737871, v97
	v_sub_f32_e32 v99, v122, v121
	v_sub_f32_e32 v98, v98, v129
	v_fmac_f32_e32 v51, 0xbf737871, v97
	v_add_f32_e32 v97, v135, v139
	v_fmac_f32_e32 v102, v103, v34
	v_fmac_f32_e32 v95, 0xbf167918, v96
	v_add_f32_e32 v98, v99, v98
	v_fmac_f32_e32 v51, 0x3f167918, v96
	v_fma_f32 v130, -0.5, v97, v20
	v_fmac_f32_e32 v95, 0x3e9e377a, v98
	v_fmac_f32_e32 v51, 0x3e9e377a, v98
	v_sub_f32_e32 v97, v133, v102
	v_mov_b32_e32 v98, v130
	v_fmac_f32_e32 v98, 0x3f737871, v97
	v_sub_f32_e32 v99, v138, v140
	v_sub_f32_e32 v100, v132, v135
	;; [unrolled: 1-line block ×3, first 2 shown]
	v_fmac_f32_e32 v130, 0xbf737871, v97
	v_fmac_f32_e32 v98, 0x3f167918, v99
	v_add_f32_e32 v100, v100, v103
	v_fmac_f32_e32 v130, 0xbf167918, v99
	v_fmac_f32_e32 v98, 0x3e9e377a, v100
	;; [unrolled: 1-line block ×3, first 2 shown]
	v_add_f32_e32 v100, v132, v101
	v_add_f32_e32 v23, v23, v107
	;; [unrolled: 1-line block ×3, first 2 shown]
	v_fma_f32 v20, -0.5, v100, v20
	v_add_f32_e32 v23, v23, v109
	v_mov_b32_e32 v100, v20
	v_add_f32_e32 v23, v23, v111
	v_fmac_f32_e32 v100, 0xbf737871, v99
	v_sub_f32_e32 v103, v135, v132
	v_sub_f32_e32 v104, v139, v101
	v_fmac_f32_e32 v20, 0x3f737871, v99
	v_add_f32_e32 v99, v138, v140
	v_add_f32_e32 v96, v96, v135
	v_fmac_f32_e32 v100, 0x3f167918, v97
	v_add_f32_e32 v103, v103, v104
	v_fmac_f32_e32 v20, 0xbf167918, v97
	v_fma_f32 v131, -0.5, v99, v21
	ds_write2_b64 v174, v[22:23], v[68:69] offset1:13
	ds_write2_b64 v174, v[70:71], v[44:45] offset0:26 offset1:39
	ds_write_b64 v174, v[66:67] offset:416
	v_mul_u32_u24_e32 v22, 0x41, v55
	v_add_f32_e32 v96, v96, v139
	v_fmac_f32_e32 v100, 0x3e9e377a, v103
	v_fmac_f32_e32 v20, 0x3e9e377a, v103
	v_sub_f32_e32 v103, v132, v101
	v_mov_b32_e32 v99, v131
	v_add_u32_sdwa v22, v22, v56 dst_sel:DWORD dst_unused:UNUSED_PAD src0_sel:DWORD src1_sel:BYTE_0
	v_add_f32_e32 v96, v96, v101
	v_fmac_f32_e32 v99, 0xbf737871, v103
	v_sub_f32_e32 v104, v135, v139
	v_sub_f32_e32 v101, v133, v138
	;; [unrolled: 1-line block ×3, first 2 shown]
	v_fmac_f32_e32 v131, 0x3f737871, v103
	v_lshl_add_u32 v197, v22, 3, v171
	v_mul_u32_u24_e32 v22, 0x41, v59
	v_fmac_f32_e32 v99, 0xbf167918, v104
	v_add_f32_e32 v101, v101, v105
	v_fmac_f32_e32 v131, 0x3f167918, v104
	v_add_u32_sdwa v22, v22, v60 dst_sel:DWORD dst_unused:UNUSED_PAD src0_sel:DWORD src1_sel:BYTE_0
	v_add_f32_e32 v97, v21, v133
	v_fmac_f32_e32 v99, 0x3e9e377a, v101
	v_fmac_f32_e32 v131, 0x3e9e377a, v101
	v_add_f32_e32 v101, v133, v102
	v_lshl_add_u32 v198, v22, 3, v171
	v_mul_u32_u24_e32 v22, 0x41, v62
	v_add_f32_e32 v97, v97, v138
	v_fmac_f32_e32 v21, -0.5, v101
	v_add_u32_sdwa v22, v22, v63 dst_sel:DWORD dst_unused:UNUSED_PAD src0_sel:DWORD src1_sel:BYTE_0
	v_add_f32_e32 v97, v97, v140
	v_mov_b32_e32 v101, v21
	v_lshl_add_u32 v206, v22, 3, v171
	v_mul_u32_u24_e32 v22, 0x41, v64
	v_add_f32_e32 v97, v97, v102
	v_fmac_f32_e32 v101, 0x3f737871, v104
	v_sub_f32_e32 v105, v138, v133
	v_sub_f32_e32 v102, v140, v102
	v_fmac_f32_e32 v21, 0xbf737871, v104
	v_add_u32_sdwa v22, v22, v65 dst_sel:DWORD dst_unused:UNUSED_PAD src0_sel:DWORD src1_sel:BYTE_0
	v_add_f32_e32 v73, v73, v114
	v_add_f32_e32 v89, v89, v129
	v_fmac_f32_e32 v101, 0xbf167918, v103
	v_add_f32_e32 v102, v105, v102
	v_fmac_f32_e32 v21, 0x3f167918, v103
	v_lshl_add_u32 v207, v22, 3, v171
	v_fmac_f32_e32 v101, 0x3e9e377a, v102
	v_fmac_f32_e32 v21, 0x3e9e377a, v102
	ds_write2_b64 v197, v[72:73], v[76:77] offset1:13
	ds_write2_b64 v197, v[78:79], v[46:47] offset0:26 offset1:39
	ds_write_b64 v197, v[74:75] offset:416
	ds_write2_b64 v198, v[80:81], v[84:85] offset1:13
	ds_write2_b64 v198, v[86:87], v[48:49] offset0:26 offset1:39
	ds_write_b64 v198, v[82:83] offset:416
	ds_write2_b64 v206, v[88:89], v[92:93] offset1:13
	ds_write2_b64 v206, v[94:95], v[50:51] offset0:26 offset1:39
	ds_write_b64 v206, v[90:91] offset:416
	ds_write2_b64 v207, v[96:97], v[98:99] offset1:13
	ds_write2_b64 v207, v[100:101], v[20:21] offset0:26 offset1:39
	ds_write_b64 v207, v[130:131] offset:416
	s_waitcnt lgkmcnt(0)
	s_barrier
	ds_read2_b64 v[88:91], v205 offset1:39
	ds_read2_b64 v[120:123], v61 offset0:69 offset1:108
	ds_read2_b64 v[116:119], v58 offset0:138 offset1:177
	;; [unrolled: 1-line block ×6, first 2 shown]
	v_add_u32_e32 v20, 0xc00, v205
	ds_read2_b64 v[104:107], v20 offset0:97 offset1:136
	ds_read2_b64 v[100:103], v57 offset0:38 offset1:77
	;; [unrolled: 1-line block ×5, first 2 shown]
	v_addc_co_u32_e64 v135, s[2:3], 0, 0, s[2:3]
	v_addc_co_u32_e64 v129, s[4:5], 0, 0, vcc
	v_cmp_gt_u16_e64 s[2:3], 13, v185
                                        ; implicit-def: $vgpr132
	s_and_saveexec_b64 s[4:5], s[2:3]
	s_cbranch_execz .LBB0_9
; %bb.8:
	ds_read_b64 v[130:131], v205 offset:2496
	ds_read_b64 v[124:125], v205 offset:5096
	;; [unrolled: 1-line block ×3, first 2 shown]
.LBB0_9:
	s_or_b64 exec, exec, s[4:5]
	v_lshlrev_b64 v[20:21], 4, v[185:186]
	v_add_co_u32_e32 v68, vcc, 0xea, v185
	v_mov_b32_e32 v140, s13
	v_add_co_u32_e32 v20, vcc, s12, v20
	v_addc_co_u32_e32 v21, vcc, v140, v21, vcc
	s_movk_i32 s4, 0xffe6
	v_add_co_u32_e32 v22, vcc, s4, v185
	v_addc_co_u32_e64 v23, s[4:5], 0, -1, vcc
	v_cmp_gt_u16_e32 vcc, 26, v185
	s_movk_i32 s4, 0xfd
	global_load_dwordx4 v[44:47], v[20:21], off offset:416
	v_cndmask_b32_e32 v139, v23, v54, vcc
	global_load_dwordx4 v[52:55], v[20:21], off offset:624
	v_cndmask_b32_e32 v138, v22, v136, vcc
	v_mul_lo_u16_sdwa v20, v128, s4 dst_sel:DWORD dst_unused:UNUSED_PAD src0_sel:BYTE_0 src1_sel:DWORD
	v_lshlrev_b64 v[22:23], 4, v[138:139]
	v_lshrrev_b16_e32 v141, 14, v20
	v_mul_lo_u16_e32 v20, 0x41, v141
	v_add_co_u32_e32 v22, vcc, s12, v22
	v_sub_u16_e32 v144, v128, v20
	v_mov_b32_e32 v20, 4
	v_addc_co_u32_e32 v23, vcc, v140, v23, vcc
	v_lshlrev_b32_sdwa v20, v20, v144 dst_sel:DWORD dst_unused:UNUSED_PAD src0_sel:DWORD src1_sel:BYTE_0
	global_load_dwordx4 v[48:51], v[22:23], off offset:416
	global_load_dwordx4 v[56:59], v20, s[12:13] offset:416
	v_mul_lo_u16_sdwa v20, v134, s4 dst_sel:DWORD dst_unused:UNUSED_PAD src0_sel:BYTE_0 src1_sel:DWORD
	v_add_u16_e32 v21, 0xc3, v185
	v_lshrrev_b16_e32 v20, 14, v20
	v_mul_lo_u16_sdwa v60, v21, s4 dst_sel:DWORD dst_unused:UNUSED_PAD src0_sel:BYTE_0 src1_sel:DWORD
	v_mul_lo_u16_e32 v20, 0x41, v20
	v_lshrrev_b16_e32 v60, 14, v60
	v_sub_u16_e32 v20, v134, v20
	v_mul_lo_u16_e32 v60, 0x41, v60
	v_and_b32_e32 v145, 0xff, v20
	v_sub_u16_e32 v21, v21, v60
	v_lshlrev_b32_e32 v20, 4, v145
	v_and_b32_e32 v146, 0xff, v21
	global_load_dwordx4 v[64:67], v20, s[12:13] offset:416
	v_lshlrev_b32_e32 v20, 4, v146
	s_movk_i32 s4, 0xfc1
	global_load_dwordx4 v[60:63], v20, s[12:13] offset:416
	v_mul_u32_u24_sdwa v20, v68, s4 dst_sel:DWORD dst_unused:UNUSED_PAD src0_sel:WORD_0 src1_sel:DWORD
	v_lshrrev_b32_e32 v147, 18, v20
	v_mul_lo_u16_e32 v20, 0x41, v147
	v_sub_u16_e32 v148, v68, v20
	v_lshlrev_b16_e32 v20, 4, v148
	v_add_co_u32_e32 v20, vcc, s12, v20
	v_add_u32_e32 v22, 0x111, v185
	v_addc_co_u32_e32 v21, vcc, 0, v140, vcc
	global_load_dwordx4 v[68:71], v[20:21], off offset:416
	v_mul_u32_u24_sdwa v20, v22, s4 dst_sel:DWORD dst_unused:UNUSED_PAD src0_sel:WORD_0 src1_sel:DWORD
	v_lshrrev_b32_e32 v20, 18, v20
	v_mul_lo_u16_e32 v20, 0x41, v20
	v_sub_u16_e32 v149, v22, v20
	v_lshlrev_b16_e32 v20, 4, v149
	v_add_co_u32_e32 v20, vcc, s12, v20
	v_addc_co_u32_e32 v21, vcc, 0, v140, vcc
	global_load_dwordx4 v[72:75], v[20:21], off offset:416
	v_add_u32_e32 v23, 0x138, v185
	v_mul_u32_u24_sdwa v20, v23, s4 dst_sel:DWORD dst_unused:UNUSED_PAD src0_sel:WORD_0 src1_sel:DWORD
	v_lshrrev_b32_e32 v20, 18, v20
	v_mul_lo_u16_e32 v20, 0x41, v20
	v_sub_u16_e32 v150, v23, v20
	v_lshlrev_b16_e32 v20, 4, v150
	v_add_co_u32_e32 v20, vcc, s12, v20
	v_addc_co_u32_e32 v21, vcc, 0, v140, vcc
	global_load_dwordx4 v[20:23], v[20:21], off offset:416
	s_waitcnt vmcnt(0) lgkmcnt(0)
	s_barrier
	v_cmp_lt_u16_e32 vcc, 25, v185
	v_lshl_add_u32 v210, v145, 3, v171
	v_lshl_add_u32 v214, v146, 3, v171
	s_movk_i32 s4, 0xc3
	v_lshl_add_u32 v218, v149, 3, v171
	v_lshl_add_u32 v168, v150, 3, v171
	v_mul_f32_e32 v152, v116, v47
	v_mul_f32_e32 v140, v120, v45
	;; [unrolled: 1-line block ×3, first 2 shown]
	v_fmac_f32_e32 v152, v117, v46
	v_mul_f32_e32 v139, v121, v45
	v_fmac_f32_e32 v140, v121, v44
	v_fma_f32 v116, v116, v46, -v151
	v_fma_f32 v120, v120, v44, -v139
	v_mul_f32_e32 v117, v123, v49
	v_fma_f32 v117, v122, v48, -v117
	v_mul_f32_e32 v121, v122, v49
	v_mul_f32_e32 v122, v119, v51
	v_fma_f32 v122, v118, v50, -v122
	v_mul_f32_e32 v118, v118, v51
	v_fmac_f32_e32 v118, v119, v50
	v_mul_f32_e32 v119, v113, v53
	v_fma_f32 v119, v112, v52, -v119
	v_mul_f32_e32 v112, v112, v53
	v_fmac_f32_e32 v112, v113, v52
	;; [unrolled: 4-line block ×3, first 2 shown]
	v_mul_f32_e32 v109, v115, v57
	v_fmac_f32_e32 v121, v123, v48
	v_fma_f32 v123, v114, v56, -v109
	v_mul_f32_e32 v114, v114, v57
	v_mul_f32_e32 v109, v111, v59
	v_fmac_f32_e32 v114, v115, v56
	v_fma_f32 v115, v110, v58, -v109
	v_mul_f32_e32 v109, v105, v65
	v_fma_f32 v151, v104, v64, -v109
	v_mul_f32_e32 v153, v104, v65
	v_mul_f32_e32 v104, v101, v67
	v_fma_f32 v154, v100, v66, -v104
	v_mul_f32_e32 v155, v100, v67
	v_mul_f32_e32 v100, v107, v61
	v_fma_f32 v156, v106, v60, -v100
	v_mul_f32_e32 v100, v103, v63
	v_fma_f32 v158, v102, v62, -v100
	v_mul_f32_e32 v100, v97, v69
	v_mul_f32_e32 v161, v96, v69
	v_fma_f32 v160, v96, v68, -v100
	v_fmac_f32_e32 v161, v97, v68
	v_mul_f32_e32 v96, v93, v71
	v_add_f32_e32 v97, v120, v116
	v_fma_f32 v162, v92, v70, -v96
	v_mul_f32_e32 v163, v92, v71
	v_mul_f32_e32 v92, v99, v73
	;; [unrolled: 1-line block ×3, first 2 shown]
	v_add_f32_e32 v96, v88, v120
	v_fma_f32 v88, -0.5, v97, v88
	v_fma_f32 v164, v98, v72, -v92
	v_fmac_f32_e32 v165, v99, v72
	v_sub_f32_e32 v97, v140, v152
	v_mov_b32_e32 v98, v88
	v_add_f32_e32 v99, v140, v152
	v_fmac_f32_e32 v98, 0x3f5db3d7, v97
	v_fmac_f32_e32 v88, 0xbf5db3d7, v97
	v_add_f32_e32 v97, v89, v140
	v_fma_f32 v89, -0.5, v99, v89
	v_fmac_f32_e32 v155, v101, v66
	v_sub_f32_e32 v100, v120, v116
	v_mov_b32_e32 v99, v89
	v_add_f32_e32 v101, v117, v122
	v_mul_f32_e32 v159, v102, v63
	v_fmac_f32_e32 v99, 0xbf5db3d7, v100
	v_fmac_f32_e32 v89, 0x3f5db3d7, v100
	v_add_f32_e32 v100, v90, v117
	v_fma_f32 v90, -0.5, v101, v90
	v_fmac_f32_e32 v159, v103, v62
	v_sub_f32_e32 v101, v121, v118
	v_mov_b32_e32 v102, v90
	v_add_f32_e32 v103, v121, v118
	v_fmac_f32_e32 v102, 0x3f5db3d7, v101
	v_fmac_f32_e32 v90, 0xbf5db3d7, v101
	v_add_f32_e32 v101, v91, v121
	v_fmac_f32_e32 v91, -0.5, v103
	v_fmac_f32_e32 v153, v105, v64
	v_sub_f32_e32 v104, v117, v122
	v_mov_b32_e32 v103, v91
	v_add_f32_e32 v105, v119, v113
	v_mul_f32_e32 v157, v106, v61
	v_fmac_f32_e32 v103, 0xbf5db3d7, v104
	v_fmac_f32_e32 v91, 0x3f5db3d7, v104
	v_add_f32_e32 v104, v84, v119
	v_fma_f32 v84, -0.5, v105, v84
	v_fmac_f32_e32 v157, v107, v60
	v_sub_f32_e32 v105, v112, v108
	v_mov_b32_e32 v106, v84
	v_add_f32_e32 v107, v112, v108
	v_fmac_f32_e32 v106, 0x3f5db3d7, v105
	v_fmac_f32_e32 v84, 0xbf5db3d7, v105
	v_add_f32_e32 v105, v85, v112
	v_fma_f32 v85, -0.5, v107, v85
	v_mul_f32_e32 v139, v110, v59
	v_add_f32_e32 v105, v105, v108
	v_sub_f32_e32 v108, v119, v113
	v_mov_b32_e32 v107, v85
	v_add_f32_e32 v109, v123, v115
	v_fmac_f32_e32 v139, v111, v58
	v_fmac_f32_e32 v107, 0xbf5db3d7, v108
	;; [unrolled: 1-line block ×3, first 2 shown]
	v_add_f32_e32 v108, v86, v123
	v_fma_f32 v86, -0.5, v109, v86
	v_sub_f32_e32 v109, v114, v139
	v_mov_b32_e32 v110, v86
	v_add_f32_e32 v111, v114, v139
	v_fmac_f32_e32 v110, 0x3f5db3d7, v109
	v_fmac_f32_e32 v86, 0xbf5db3d7, v109
	v_add_f32_e32 v109, v87, v114
	v_fmac_f32_e32 v87, -0.5, v111
	v_add_f32_e32 v104, v104, v113
	v_sub_f32_e32 v112, v123, v115
	v_mov_b32_e32 v111, v87
	v_add_f32_e32 v113, v151, v154
	v_fmac_f32_e32 v111, 0xbf5db3d7, v112
	v_fmac_f32_e32 v87, 0x3f5db3d7, v112
	v_add_f32_e32 v112, v80, v151
	v_fma_f32 v80, -0.5, v113, v80
	v_add_f32_e32 v108, v108, v115
	v_sub_f32_e32 v113, v153, v155
	v_mov_b32_e32 v114, v80
	v_add_f32_e32 v115, v153, v155
	v_fmac_f32_e32 v114, 0x3f5db3d7, v113
	v_fmac_f32_e32 v80, 0xbf5db3d7, v113
	v_add_f32_e32 v113, v81, v153
	v_fma_f32 v81, -0.5, v115, v81
	;; [unrolled: 8-line block ×3, first 2 shown]
	v_add_f32_e32 v101, v101, v118
	v_sub_f32_e32 v117, v157, v159
	v_mov_b32_e32 v120, v82
	v_add_f32_e32 v118, v157, v159
	v_fmac_f32_e32 v120, 0x3f5db3d7, v117
	v_fmac_f32_e32 v82, 0xbf5db3d7, v117
	v_add_f32_e32 v117, v83, v157
	v_fmac_f32_e32 v83, -0.5, v118
	v_sub_f32_e32 v118, v156, v158
	v_mov_b32_e32 v121, v83
	v_fmac_f32_e32 v121, 0xbf5db3d7, v118
	v_fmac_f32_e32 v83, 0x3f5db3d7, v118
	v_add_f32_e32 v118, v76, v160
	v_mul_f32_e32 v92, v95, v75
	v_add_f32_e32 v100, v100, v122
	v_add_f32_e32 v122, v118, v162
	v_add_f32_e32 v118, v160, v162
	v_fmac_f32_e32 v163, v93, v70
	v_fma_f32 v166, v94, v74, -v92
	v_mul_f32_e32 v92, v125, v21
	v_fma_f32 v76, -0.5, v118, v76
	v_fma_f32 v92, v124, v20, -v92
	v_mul_f32_e32 v93, v124, v21
	v_sub_f32_e32 v118, v161, v163
	v_mov_b32_e32 v124, v76
	v_fmac_f32_e32 v124, 0x3f5db3d7, v118
	v_fmac_f32_e32 v76, 0xbf5db3d7, v118
	v_add_f32_e32 v118, v77, v161
	v_add_f32_e32 v123, v118, v163
	;; [unrolled: 1-line block ×3, first 2 shown]
	v_fma_f32 v77, -0.5, v118, v77
	v_fmac_f32_e32 v93, v125, v20
	v_sub_f32_e32 v118, v160, v162
	v_mov_b32_e32 v125, v77
	v_mul_f32_e32 v167, v94, v75
	v_mul_f32_e32 v94, v133, v23
	v_fmac_f32_e32 v125, 0xbf5db3d7, v118
	v_fmac_f32_e32 v77, 0x3f5db3d7, v118
	v_add_f32_e32 v118, v78, v164
	v_fmac_f32_e32 v167, v95, v74
	v_fma_f32 v94, v132, v22, -v94
	v_mul_f32_e32 v95, v132, v23
	v_add_f32_e32 v132, v118, v166
	v_add_f32_e32 v118, v164, v166
	v_fma_f32 v78, -0.5, v118, v78
	v_add_f32_e32 v97, v97, v152
	v_add_f32_e32 v109, v109, v139
	v_sub_f32_e32 v118, v165, v167
	v_mov_b32_e32 v139, v78
	v_fmac_f32_e32 v139, 0x3f5db3d7, v118
	v_fmac_f32_e32 v78, 0xbf5db3d7, v118
	v_add_f32_e32 v118, v79, v165
	ds_write2_b64 v205, v[96:97], v[98:99] offset1:65
	ds_write_b64 v205, v[88:89] offset:1040
	v_mov_b32_e32 v88, 0xc3
	v_fmac_f32_e32 v95, v133, v22
	v_add_f32_e32 v133, v118, v167
	v_add_f32_e32 v118, v165, v167
	v_cndmask_b32_e32 v88, 0, v88, vcc
	v_fmac_f32_e32 v79, -0.5, v118
	v_add_u32_e32 v88, v138, v88
	v_sub_f32_e32 v118, v164, v166
	v_mov_b32_e32 v140, v79
	v_lshl_add_u32 v169, v88, 3, v171
	v_fmac_f32_e32 v140, 0xbf5db3d7, v118
	v_fmac_f32_e32 v79, 0x3f5db3d7, v118
	v_add_f32_e32 v118, v92, v94
	ds_write2_b64 v169, v[100:101], v[102:103] offset1:65
	ds_write_b64 v169, v[90:91] offset:1040
	ds_write2_b64 v137, v[104:105], v[106:107] offset0:80 offset1:145
	ds_write_b64 v205, v[84:85] offset:2704
	v_mul_u32_u24_e32 v84, 0xc3, v141
	v_fma_f32 v208, -0.5, v118, v130
	v_add_u32_sdwa v84, v84, v144 dst_sel:DWORD dst_unused:UNUSED_PAD src0_sel:DWORD src1_sel:BYTE_0
	v_add_f32_e32 v112, v112, v154
	v_add_f32_e32 v113, v113, v155
	v_sub_f32_e32 v119, v93, v95
	v_mov_b32_e32 v118, v208
	v_lshl_add_u32 v186, v84, 3, v171
	v_add_u32_e32 v84, 0x800, v210
	v_add_f32_e32 v116, v116, v158
	v_add_f32_e32 v117, v117, v159
	v_fmac_f32_e32 v118, 0x3f5db3d7, v119
	v_fmac_f32_e32 v208, 0xbf5db3d7, v119
	v_add_f32_e32 v119, v93, v95
	ds_write2_b64 v186, v[108:109], v[110:111] offset1:65
	ds_write_b64 v186, v[86:87] offset:1040
	ds_write2_b64 v84, v[112:113], v[114:115] offset0:134 offset1:199
	ds_write_b64 v210, v[80:81] offset:4160
	v_add_u32_e32 v80, 0x1000, v214
	v_fma_f32 v209, -0.5, v119, v131
	ds_write2_b64 v80, v[116:117], v[120:121] offset0:73 offset1:138
	ds_write_b64 v214, v[82:83] offset:5720
	v_mad_legacy_u16 v80, v147, s4, v148
	v_sub_f32_e32 v151, v92, v94
	v_mov_b32_e32 v119, v209
	v_lshl_add_u32 v215, v80, 3, v171
	v_fmac_f32_e32 v119, 0xbf5db3d7, v151
	v_fmac_f32_e32 v209, 0x3f5db3d7, v151
	ds_write2_b64 v215, v[122:123], v[124:125] offset1:65
	ds_write_b64 v215, v[76:77] offset:1040
	v_add_u32_e32 v76, 0x1800, v218
	ds_write2_b64 v76, v[132:133], v[139:140] offset0:12 offset1:77
	ds_write_b64 v218, v[78:79] offset:7280
	s_and_saveexec_b64 s[4:5], s[2:3]
	s_cbranch_execz .LBB0_11
; %bb.10:
	v_add_f32_e32 v76, v131, v93
	v_add_f32_e32 v77, v76, v95
	;; [unrolled: 1-line block ×4, first 2 shown]
	v_add_u32_e32 v78, 0x1800, v168
	ds_write2_b64 v78, v[76:77], v[118:119] offset0:12 offset1:77
	ds_write_b64 v168, v[208:209] offset:7280
.LBB0_11:
	s_or_b64 exec, exec, s[4:5]
	v_lshlrev_b64 v[92:93], 5, v[126:127]
	v_lshlrev_b32_e32 v76, 5, v185
	s_waitcnt lgkmcnt(0)
	s_barrier
	global_load_dwordx4 v[84:87], v76, s[12:13] offset:1456
	s_nop 0
	global_load_dwordx4 v[76:79], v76, s[12:13] offset:1472
	v_mov_b32_e32 v110, s13
	v_add_co_u32_e32 v92, vcc, s12, v92
	v_lshlrev_b64 v[100:101], 5, v[128:129]
	v_lshlrev_b32_e32 v80, 5, v136
	v_addc_co_u32_e32 v93, vcc, v110, v93, vcc
	global_load_dwordx4 v[88:91], v80, s[12:13] offset:1456
	s_nop 0
	global_load_dwordx4 v[80:83], v80, s[12:13] offset:1472
	s_nop 0
	global_load_dwordx4 v[96:99], v[92:93], off offset:1456
	s_nop 0
	global_load_dwordx4 v[92:95], v[92:93], off offset:1472
	v_add_co_u32_e32 v100, vcc, s12, v100
	v_addc_co_u32_e32 v101, vcc, v110, v101, vcc
	global_load_dwordx4 v[104:107], v[100:101], off offset:1456
	v_lshlrev_b64 v[108:109], 5, v[134:135]
	ds_read2_b64 v[130:133], v205 offset1:39
	ds_read2_b64 v[120:123], v205 offset0:156 offset1:195
	global_load_dwordx4 v[100:103], v[100:101], off offset:1472
	v_add_co_u32_e32 v108, vcc, s12, v108
	v_addc_co_u32_e32 v109, vcc, v110, v109, vcc
	global_load_dwordx4 v[112:115], v[108:109], off offset:1456
	v_mov_b32_e32 v111, s17
	v_add_u32_e32 v144, 0x800, v205
	v_add_u32_e32 v152, 0x1000, v205
	ds_read2_b64 v[124:127], v205 offset0:78 offset1:117
	ds_read_b64 v[116:117], v205 offset:7488
	v_addc_co_u32_e64 v147, vcc, 0, v111, s[6:7]
	ds_read2_b64 v[134:137], v144 offset0:134 offset1:173
	ds_read2_b64 v[138:141], v152 offset0:34 offset1:73
	global_load_dwordx4 v[108:111], v[108:109], off offset:1472
	v_add_u32_e32 v145, 0x1800, v205
	v_add_u32_e32 v146, 0x400, v205
	ds_read2_b64 v[148:151], v145 offset0:12 offset1:51
	ds_read2_b64 v[153:156], v146 offset0:106 offset1:145
	;; [unrolled: 1-line block ×7, first 2 shown]
	v_lshl_add_u32 v219, v143, 3, v142
	s_movk_i32 s13, 0x1000
	s_movk_i32 s4, 0x1e78
	s_waitcnt vmcnt(9) lgkmcnt(11)
	v_mul_f32_e32 v129, v122, v85
	s_waitcnt lgkmcnt(8)
	v_mul_f32_e32 v165, v135, v87
	s_waitcnt vmcnt(8) lgkmcnt(6)
	v_mul_f32_e32 v229, v149, v79
	v_mul_f32_e32 v128, v123, v85
	;; [unrolled: 1-line block ×4, first 2 shown]
	v_fmac_f32_e32 v129, v123, v84
	v_fma_f32 v123, v134, v86, -v165
	v_fma_f32 v134, v148, v78, -v229
	s_waitcnt vmcnt(5) lgkmcnt(3)
	v_mul_f32_e32 v148, v162, v99
	v_mul_f32_e32 v233, v137, v91
	v_fma_f32 v229, v161, v98, -v148
	s_waitcnt vmcnt(4)
	v_mul_f32_e32 v148, v160, v93
	v_mul_f32_e32 v167, v141, v77
	v_mul_f32_e32 v234, v136, v91
	v_mul_f32_e32 v237, v151, v83
	v_fma_f32 v136, v136, v90, -v233
	v_fma_f32 v233, v159, v92, -v148
	s_waitcnt lgkmcnt(2)
	v_mul_f32_e32 v148, v202, v95
	v_mul_f32_e32 v228, v140, v77
	v_fma_f32 v122, v122, v84, -v128
	v_fma_f32 v128, v140, v76, -v167
	;; [unrolled: 1-line block ×4, first 2 shown]
	s_waitcnt vmcnt(3) lgkmcnt(1)
	v_mul_f32_e32 v148, v221, v105
	v_fma_f32 v240, v220, v104, -v148
	v_mul_f32_e32 v148, v164, v107
	v_fma_f32 v241, v163, v106, -v148
	s_waitcnt vmcnt(2) lgkmcnt(0)
	v_mul_f32_e32 v148, v225, v101
	v_fma_f32 v243, v224, v100, -v148
	v_mul_f32_e32 v244, v224, v101
	v_mul_f32_e32 v148, v204, v103
	v_fmac_f32_e32 v244, v225, v100
	v_fma_f32 v225, v203, v102, -v148
	s_waitcnt vmcnt(1)
	v_mul_f32_e32 v148, v223, v113
	v_fma_f32 v246, v222, v112, -v148
	v_mul_f32_e32 v148, v139, v115
	v_fma_f32 v248, v138, v114, -v148
	v_mul_f32_e32 v249, v138, v115
	s_waitcnt vmcnt(0)
	v_mul_f32_e32 v138, v227, v109
	v_fma_f32 v250, v226, v108, -v138
	v_mul_f32_e32 v226, v226, v109
	v_mul_f32_e32 v138, v117, v111
	v_fmac_f32_e32 v249, v139, v114
	v_fmac_f32_e32 v226, v227, v108
	v_fma_f32 v139, v116, v110, -v138
	v_mul_f32_e32 v227, v116, v111
	v_add_f32_e32 v116, v130, v122
	v_add_f32_e32 v116, v116, v123
	;; [unrolled: 1-line block ×5, first 2 shown]
	v_mul_f32_e32 v231, v154, v89
	v_mul_f32_e32 v238, v150, v83
	v_fmac_f32_e32 v230, v149, v78
	v_fma_f32 v150, -0.5, v116, v130
	v_mul_f32_e32 v232, v153, v89
	v_fmac_f32_e32 v166, v135, v86
	v_fmac_f32_e32 v228, v141, v76
	v_fma_f32 v135, v153, v88, -v231
	v_sub_f32_e32 v116, v129, v230
	v_mov_b32_e32 v153, v150
	v_fmac_f32_e32 v227, v117, v110
	v_fmac_f32_e32 v153, 0x3f737871, v116
	v_sub_f32_e32 v117, v166, v228
	v_sub_f32_e32 v138, v122, v123
	;; [unrolled: 1-line block ×3, first 2 shown]
	v_fmac_f32_e32 v150, 0xbf737871, v116
	v_fmac_f32_e32 v153, 0x3f167918, v117
	v_add_f32_e32 v138, v138, v149
	v_fmac_f32_e32 v150, 0xbf167918, v117
	v_mul_f32_e32 v141, v156, v97
	v_fmac_f32_e32 v153, 0x3e9e377a, v138
	v_fmac_f32_e32 v150, 0x3e9e377a, v138
	v_add_f32_e32 v138, v122, v134
	v_mul_f32_e32 v235, v158, v81
	v_fma_f32 v141, v155, v96, -v141
	v_mul_f32_e32 v167, v155, v97
	v_fma_f32 v155, -0.5, v138, v130
	v_mul_f32_e32 v236, v157, v81
	v_fmac_f32_e32 v234, v137, v90
	v_fma_f32 v137, v157, v80, -v235
	v_mov_b32_e32 v157, v155
	v_fmac_f32_e32 v157, 0xbf737871, v117
	v_fmac_f32_e32 v155, 0x3f737871, v117
	;; [unrolled: 1-line block ×4, first 2 shown]
	v_add_f32_e32 v116, v131, v129
	v_add_f32_e32 v116, v116, v166
	;; [unrolled: 1-line block ×5, first 2 shown]
	v_fmac_f32_e32 v238, v151, v82
	v_fma_f32 v151, -0.5, v116, v131
	v_fmac_f32_e32 v232, v154, v88
	v_sub_f32_e32 v116, v122, v134
	v_mov_b32_e32 v154, v151
	v_sub_f32_e32 v130, v123, v122
	v_fmac_f32_e32 v154, 0xbf737871, v116
	v_sub_f32_e32 v117, v123, v128
	v_sub_f32_e32 v122, v129, v166
	;; [unrolled: 1-line block ×3, first 2 shown]
	v_fmac_f32_e32 v151, 0x3f737871, v116
	v_fmac_f32_e32 v154, 0xbf167918, v117
	v_add_f32_e32 v122, v122, v123
	v_fmac_f32_e32 v151, 0x3f167918, v117
	v_fmac_f32_e32 v154, 0x3e9e377a, v122
	;; [unrolled: 1-line block ×3, first 2 shown]
	v_add_f32_e32 v122, v129, v230
	v_fmac_f32_e32 v167, v156, v96
	v_fma_f32 v156, -0.5, v122, v131
	v_fmac_f32_e32 v236, v158, v80
	v_mov_b32_e32 v158, v156
	v_fmac_f32_e32 v158, 0x3f737871, v117
	v_fmac_f32_e32 v156, 0xbf737871, v117
	;; [unrolled: 1-line block ×4, first 2 shown]
	v_add_f32_e32 v116, v132, v135
	v_add_f32_e32 v116, v116, v136
	;; [unrolled: 1-line block ×3, first 2 shown]
	v_mul_f32_e32 v235, v159, v93
	v_add_f32_e32 v159, v116, v140
	v_add_f32_e32 v116, v136, v137
	v_mul_f32_e32 v231, v161, v99
	v_sub_f32_e32 v122, v166, v129
	v_sub_f32_e32 v123, v228, v230
	v_fma_f32 v161, -0.5, v116, v132
	v_mul_f32_e32 v242, v163, v107
	v_add_f32_e32 v122, v122, v123
	v_sub_f32_e32 v116, v232, v238
	v_mov_b32_e32 v163, v161
	v_fmac_f32_e32 v158, 0x3e9e377a, v122
	v_fmac_f32_e32 v156, 0x3e9e377a, v122
	;; [unrolled: 1-line block ×3, first 2 shown]
	v_sub_f32_e32 v117, v234, v236
	v_sub_f32_e32 v122, v135, v136
	;; [unrolled: 1-line block ×3, first 2 shown]
	v_fmac_f32_e32 v161, 0xbf737871, v116
	v_fmac_f32_e32 v163, 0x3f167918, v117
	v_add_f32_e32 v122, v122, v123
	v_fmac_f32_e32 v161, 0xbf167918, v117
	v_fmac_f32_e32 v163, 0x3e9e377a, v122
	;; [unrolled: 1-line block ×3, first 2 shown]
	v_add_f32_e32 v122, v135, v140
	v_fma_f32 v132, -0.5, v122, v132
	v_mov_b32_e32 v165, v132
	v_fmac_f32_e32 v165, 0xbf737871, v117
	v_fmac_f32_e32 v132, 0x3f737871, v117
	;; [unrolled: 1-line block ×4, first 2 shown]
	v_add_f32_e32 v116, v133, v232
	v_add_f32_e32 v116, v116, v234
	;; [unrolled: 1-line block ×3, first 2 shown]
	v_fmac_f32_e32 v235, v160, v92
	v_add_f32_e32 v160, v116, v238
	v_add_f32_e32 v116, v234, v236
	v_fmac_f32_e32 v231, v162, v98
	v_sub_f32_e32 v122, v136, v135
	v_sub_f32_e32 v123, v137, v140
	v_fma_f32 v162, -0.5, v116, v133
	v_fmac_f32_e32 v242, v164, v106
	v_add_f32_e32 v122, v122, v123
	v_sub_f32_e32 v116, v135, v140
	v_mov_b32_e32 v164, v162
	v_fmac_f32_e32 v165, 0x3e9e377a, v122
	v_fmac_f32_e32 v132, 0x3e9e377a, v122
	v_fmac_f32_e32 v164, 0xbf737871, v116
	v_sub_f32_e32 v117, v136, v137
	v_sub_f32_e32 v122, v232, v234
	;; [unrolled: 1-line block ×3, first 2 shown]
	v_fmac_f32_e32 v162, 0x3f737871, v116
	v_fmac_f32_e32 v164, 0xbf167918, v117
	v_add_f32_e32 v122, v122, v123
	v_fmac_f32_e32 v162, 0x3f167918, v117
	v_fmac_f32_e32 v164, 0x3e9e377a, v122
	;; [unrolled: 1-line block ×3, first 2 shown]
	v_add_f32_e32 v122, v232, v238
	v_fmac_f32_e32 v133, -0.5, v122
	v_mov_b32_e32 v166, v133
	v_fmac_f32_e32 v166, 0x3f737871, v117
	v_fmac_f32_e32 v133, 0xbf737871, v117
	v_fmac_f32_e32 v166, 0xbf167918, v116
	v_fmac_f32_e32 v133, 0x3f167918, v116
	v_add_f32_e32 v116, v124, v141
	v_add_f32_e32 v116, v116, v229
	v_sub_f32_e32 v122, v234, v232
	v_sub_f32_e32 v123, v236, v238
	v_add_f32_e32 v116, v116, v233
	v_mul_f32_e32 v239, v201, v95
	v_mul_f32_e32 v245, v203, v103
	v_add_f32_e32 v122, v122, v123
	v_add_f32_e32 v203, v116, v237
	;; [unrolled: 1-line block ×3, first 2 shown]
	v_fmac_f32_e32 v239, v202, v94
	v_mul_f32_e32 v220, v220, v105
	v_fmac_f32_e32 v166, 0x3e9e377a, v122
	v_fmac_f32_e32 v133, 0x3e9e377a, v122
	v_fma_f32 v122, -0.5, v116, v124
	v_fmac_f32_e32 v220, v221, v104
	v_sub_f32_e32 v116, v167, v239
	v_mov_b32_e32 v221, v122
	v_sub_f32_e32 v138, v128, v134
	v_fmac_f32_e32 v221, 0x3f737871, v116
	v_sub_f32_e32 v117, v231, v235
	v_sub_f32_e32 v123, v141, v229
	v_sub_f32_e32 v128, v237, v233
	v_fmac_f32_e32 v122, 0xbf737871, v116
	v_fmac_f32_e32 v221, 0x3f167918, v117
	v_add_f32_e32 v123, v123, v128
	v_fmac_f32_e32 v122, 0xbf167918, v117
	v_fmac_f32_e32 v221, 0x3e9e377a, v123
	v_fmac_f32_e32 v122, 0x3e9e377a, v123
	v_add_f32_e32 v123, v141, v237
	v_mul_f32_e32 v247, v222, v113
	v_fma_f32 v201, -0.5, v123, v124
	v_fmac_f32_e32 v247, v223, v112
	v_mov_b32_e32 v223, v201
	v_fmac_f32_e32 v223, 0xbf737871, v117
	v_fmac_f32_e32 v201, 0x3f737871, v117
	;; [unrolled: 1-line block ×4, first 2 shown]
	v_add_f32_e32 v116, v125, v167
	v_add_f32_e32 v116, v116, v231
	v_sub_f32_e32 v123, v229, v141
	v_sub_f32_e32 v124, v233, v237
	v_add_f32_e32 v116, v116, v235
	v_fmac_f32_e32 v245, v204, v102
	v_add_f32_e32 v123, v123, v124
	v_add_f32_e32 v204, v116, v239
	;; [unrolled: 1-line block ×3, first 2 shown]
	v_fmac_f32_e32 v223, 0x3e9e377a, v123
	v_fmac_f32_e32 v201, 0x3e9e377a, v123
	v_fma_f32 v123, -0.5, v116, v125
	v_sub_f32_e32 v116, v141, v237
	v_mov_b32_e32 v222, v123
	v_fmac_f32_e32 v222, 0xbf737871, v116
	v_sub_f32_e32 v117, v229, v233
	v_sub_f32_e32 v124, v167, v231
	;; [unrolled: 1-line block ×3, first 2 shown]
	v_fmac_f32_e32 v123, 0x3f737871, v116
	v_fmac_f32_e32 v222, 0xbf167918, v117
	v_add_f32_e32 v124, v124, v128
	v_fmac_f32_e32 v123, 0x3f167918, v117
	v_fmac_f32_e32 v222, 0x3e9e377a, v124
	;; [unrolled: 1-line block ×3, first 2 shown]
	v_add_f32_e32 v124, v167, v239
	v_fma_f32 v202, -0.5, v124, v125
	v_mov_b32_e32 v224, v202
	v_fmac_f32_e32 v224, 0x3f737871, v117
	v_fmac_f32_e32 v202, 0xbf737871, v117
	;; [unrolled: 1-line block ×4, first 2 shown]
	v_add_f32_e32 v116, v126, v240
	v_sub_f32_e32 v124, v231, v167
	v_sub_f32_e32 v125, v235, v239
	v_add_f32_e32 v116, v116, v241
	v_add_f32_e32 v124, v124, v125
	;; [unrolled: 1-line block ×3, first 2 shown]
	v_fmac_f32_e32 v224, 0x3e9e377a, v124
	v_fmac_f32_e32 v202, 0x3e9e377a, v124
	v_add_f32_e32 v124, v116, v225
	v_add_f32_e32 v116, v241, v243
	v_fma_f32 v134, -0.5, v116, v126
	v_sub_f32_e32 v116, v220, v245
	v_mov_b32_e32 v128, v134
	v_fmac_f32_e32 v128, 0x3f737871, v116
	v_sub_f32_e32 v117, v242, v244
	v_sub_f32_e32 v125, v240, v241
	;; [unrolled: 1-line block ×3, first 2 shown]
	v_fmac_f32_e32 v134, 0xbf737871, v116
	v_fmac_f32_e32 v128, 0x3f167918, v117
	v_add_f32_e32 v125, v125, v129
	v_fmac_f32_e32 v134, 0xbf167918, v117
	v_fmac_f32_e32 v128, 0x3e9e377a, v125
	v_fmac_f32_e32 v134, 0x3e9e377a, v125
	v_add_f32_e32 v125, v240, v225
	v_add_f32_e32 v130, v130, v138
	v_fma_f32 v126, -0.5, v125, v126
	v_fmac_f32_e32 v157, 0x3e9e377a, v130
	v_fmac_f32_e32 v155, 0x3e9e377a, v130
	v_mov_b32_e32 v130, v126
	v_fmac_f32_e32 v130, 0xbf737871, v117
	v_fmac_f32_e32 v126, 0x3f737871, v117
	;; [unrolled: 1-line block ×4, first 2 shown]
	v_add_f32_e32 v116, v127, v220
	v_sub_f32_e32 v125, v241, v240
	v_sub_f32_e32 v129, v243, v225
	v_add_f32_e32 v116, v116, v242
	v_add_f32_e32 v125, v125, v129
	;; [unrolled: 1-line block ×3, first 2 shown]
	v_fmac_f32_e32 v130, 0x3e9e377a, v125
	v_fmac_f32_e32 v126, 0x3e9e377a, v125
	v_add_f32_e32 v125, v116, v245
	v_add_f32_e32 v116, v242, v244
	v_fma_f32 v135, -0.5, v116, v127
	v_sub_f32_e32 v116, v240, v225
	v_mov_b32_e32 v129, v135
	v_fmac_f32_e32 v129, 0xbf737871, v116
	v_sub_f32_e32 v117, v241, v243
	v_sub_f32_e32 v131, v220, v242
	;; [unrolled: 1-line block ×3, first 2 shown]
	v_fmac_f32_e32 v135, 0x3f737871, v116
	v_fmac_f32_e32 v129, 0xbf167918, v117
	v_add_f32_e32 v131, v131, v136
	v_fmac_f32_e32 v135, 0x3f167918, v117
	v_fmac_f32_e32 v129, 0x3e9e377a, v131
	;; [unrolled: 1-line block ×3, first 2 shown]
	v_add_f32_e32 v131, v220, v245
	v_fmac_f32_e32 v127, -0.5, v131
	v_mov_b32_e32 v131, v127
	v_fmac_f32_e32 v131, 0x3f737871, v117
	v_fmac_f32_e32 v127, 0xbf737871, v117
	;; [unrolled: 1-line block ×4, first 2 shown]
	v_add_f32_e32 v116, v120, v246
	v_sub_f32_e32 v136, v242, v220
	v_sub_f32_e32 v137, v244, v245
	v_add_f32_e32 v116, v116, v248
	v_add_f32_e32 v136, v136, v137
	;; [unrolled: 1-line block ×3, first 2 shown]
	v_fmac_f32_e32 v131, 0x3e9e377a, v136
	v_fmac_f32_e32 v127, 0x3e9e377a, v136
	v_add_f32_e32 v136, v116, v139
	v_add_f32_e32 v116, v248, v250
	v_fma_f32 v116, -0.5, v116, v120
	v_sub_f32_e32 v117, v247, v227
	v_mov_b32_e32 v138, v116
	v_fmac_f32_e32 v138, 0x3f737871, v117
	v_sub_f32_e32 v137, v249, v226
	v_sub_f32_e32 v140, v246, v248
	;; [unrolled: 1-line block ×3, first 2 shown]
	v_fmac_f32_e32 v116, 0xbf737871, v117
	v_fmac_f32_e32 v138, 0x3f167918, v137
	v_add_f32_e32 v140, v140, v141
	v_fmac_f32_e32 v116, 0xbf167918, v137
	v_fmac_f32_e32 v138, 0x3e9e377a, v140
	;; [unrolled: 1-line block ×3, first 2 shown]
	v_add_f32_e32 v140, v246, v139
	v_fma_f32 v120, -0.5, v140, v120
	v_mov_b32_e32 v140, v120
	v_fmac_f32_e32 v140, 0xbf737871, v137
	v_fmac_f32_e32 v120, 0x3f737871, v137
	;; [unrolled: 1-line block ×4, first 2 shown]
	v_add_f32_e32 v117, v121, v247
	v_add_f32_e32 v117, v117, v249
	;; [unrolled: 1-line block ×5, first 2 shown]
	v_sub_f32_e32 v141, v248, v246
	v_sub_f32_e32 v167, v250, v139
	v_fma_f32 v117, -0.5, v117, v121
	v_add_f32_e32 v141, v141, v167
	v_sub_f32_e32 v167, v246, v139
	v_mov_b32_e32 v139, v117
	v_fmac_f32_e32 v140, 0x3e9e377a, v141
	v_fmac_f32_e32 v120, 0x3e9e377a, v141
	;; [unrolled: 1-line block ×3, first 2 shown]
	v_sub_f32_e32 v220, v248, v250
	v_sub_f32_e32 v141, v247, v249
	;; [unrolled: 1-line block ×3, first 2 shown]
	v_fmac_f32_e32 v117, 0x3f737871, v167
	v_fmac_f32_e32 v139, 0xbf167918, v220
	v_add_f32_e32 v141, v141, v225
	v_fmac_f32_e32 v117, 0x3f167918, v220
	v_fmac_f32_e32 v139, 0x3e9e377a, v141
	v_fmac_f32_e32 v117, 0x3e9e377a, v141
	v_add_f32_e32 v141, v247, v227
	v_fmac_f32_e32 v121, -0.5, v141
	v_mov_b32_e32 v141, v121
	v_fmac_f32_e32 v141, 0x3f737871, v220
	v_sub_f32_e32 v225, v249, v247
	v_sub_f32_e32 v226, v226, v227
	v_fmac_f32_e32 v141, 0xbf167918, v167
	v_add_f32_e32 v225, v225, v226
	v_fmac_f32_e32 v121, 0xbf737871, v220
	ds_write_b64 v205, v[153:154] offset:1560
	ds_write_b64 v205, v[157:158] offset:3120
	;; [unrolled: 1-line block ×4, first 2 shown]
	ds_write2_b64 v205, v[148:149], v[159:160] offset1:39
	ds_write_b64 v205, v[163:164] offset:1872
	ds_write_b64 v205, v[165:166] offset:3432
	;; [unrolled: 1-line block ×4, first 2 shown]
	v_add_u32_e32 v132, 0x800, v219
	v_add_u32_e32 v133, 0x1000, v219
	v_fmac_f32_e32 v141, 0x3e9e377a, v225
	v_fmac_f32_e32 v121, 0x3f167918, v167
	ds_write2_b64 v205, v[203:204], v[124:125] offset0:78 offset1:117
	ds_write2_b64 v132, v[221:222], v[128:129] offset0:17 offset1:56
	;; [unrolled: 1-line block ×3, first 2 shown]
	ds_write_b64 v205, v[136:137] offset:1248
	ds_write2_b64 v132, v[138:139], v[223:224] offset0:95 offset1:212
	v_add_u32_e32 v132, 0xc00, v219
	v_fmac_f32_e32 v121, 0x3e9e377a, v225
	ds_write2_b64 v132, v[130:131], v[140:141] offset0:123 offset1:162
	v_add_u32_e32 v132, 0x1400, v219
	ds_write2_b64 v132, v[120:121], v[122:123] offset0:101 offset1:218
	v_add_u32_e32 v132, 0x1800, v219
	ds_write2_b64 v132, v[134:135], v[116:117] offset0:129 offset1:168
	v_add_co_u32_e32 v132, vcc, s13, v199
	v_addc_co_u32_e32 v133, vcc, 0, v147, vcc
	s_waitcnt lgkmcnt(0)
	s_barrier
	global_load_dwordx2 v[142:143], v[132:133], off offset:3704
	v_add_co_u32_e32 v132, vcc, s4, v199
	v_addc_co_u32_e32 v133, vcc, 0, v147, vcc
	global_load_dwordx2 v[157:158], v[132:133], off offset:600
	global_load_dwordx2 v[159:160], v[132:133], off offset:1200
	;; [unrolled: 1-line block ×5, first 2 shown]
	s_movk_i32 s4, 0x2000
	v_add_co_u32_e32 v148, vcc, s4, v199
	global_load_dwordx2 v[203:204], v[132:133], off offset:3600
	v_addc_co_u32_e32 v149, vcc, 0, v147, vcc
	global_load_dwordx2 v[221:222], v[148:149], off offset:3808
	s_movk_i32 s4, 0x3000
	v_add_co_u32_e32 v148, vcc, s4, v199
	v_addc_co_u32_e32 v149, vcc, 0, v147, vcc
	global_load_dwordx2 v[223:224], v[148:149], off offset:312
	global_load_dwordx2 v[225:226], v[148:149], off offset:912
	global_load_dwordx2 v[227:228], v[148:149], off offset:1512
	global_load_dwordx2 v[229:230], v[148:149], off offset:2112
	global_load_dwordx2 v[231:232], v[148:149], off offset:2712
	ds_read2_b64 v[147:150], v205 offset1:75
	ds_read2_b64 v[153:156], v205 offset0:150 offset1:225
	s_waitcnt vmcnt(12) lgkmcnt(1)
	v_mul_f32_e32 v151, v148, v143
	v_mul_f32_e32 v234, v147, v143
	v_fma_f32 v233, v147, v142, -v151
	v_fmac_f32_e32 v234, v148, v142
	s_waitcnt vmcnt(11)
	v_mul_f32_e32 v142, v150, v158
	v_mul_f32_e32 v143, v149, v158
	v_fma_f32 v142, v149, v157, -v142
	v_fmac_f32_e32 v143, v150, v157
	ds_read2_b64 v[147:150], v144 offset0:44 offset1:119
	ds_write2_b64 v205, v[233:234], v[142:143] offset1:75
	s_waitcnt vmcnt(10) lgkmcnt(2)
	v_mul_f32_e32 v143, v153, v160
	v_mul_f32_e32 v142, v154, v160
	v_fmac_f32_e32 v143, v154, v159
	s_waitcnt vmcnt(9)
	v_mul_f32_e32 v151, v156, v162
	v_mul_f32_e32 v154, v155, v162
	v_fma_f32 v142, v153, v159, -v142
	v_fma_f32 v153, v155, v161, -v151
	v_fmac_f32_e32 v154, v156, v161
	ds_write2_b64 v205, v[142:143], v[153:154] offset0:150 offset1:225
	s_waitcnt vmcnt(8) lgkmcnt(2)
	v_mul_f32_e32 v142, v148, v164
	v_fma_f32 v157, v147, v163, -v142
	v_mul_f32_e32 v158, v147, v164
	v_add_u32_e32 v142, 0xc00, v205
	v_fmac_f32_e32 v158, v148, v163
	s_waitcnt vmcnt(7)
	v_mul_f32_e32 v143, v150, v166
	ds_read2_b64 v[153:156], v142 offset0:66 offset1:141
	v_mul_f32_e32 v148, v149, v166
	v_fma_f32 v147, v149, v165, -v143
	v_fmac_f32_e32 v148, v150, v165
	ds_write2_b64 v144, v[157:158], v[147:148] offset0:44 offset1:119
	ds_read2_b64 v[147:150], v152 offset0:88 offset1:163
	s_waitcnt vmcnt(6) lgkmcnt(2)
	v_mul_f32_e32 v143, v154, v204
	v_mul_f32_e32 v158, v153, v204
	v_fma_f32 v157, v153, v203, -v143
	v_fmac_f32_e32 v158, v154, v203
	s_waitcnt vmcnt(5)
	v_mul_f32_e32 v143, v156, v222
	v_mul_f32_e32 v154, v155, v222
	v_fma_f32 v153, v155, v221, -v143
	v_fmac_f32_e32 v154, v156, v221
	s_waitcnt vmcnt(4) lgkmcnt(0)
	v_mul_f32_e32 v143, v148, v224
	ds_write2_b64 v142, v[157:158], v[153:154] offset0:66 offset1:141
	v_fma_f32 v157, v147, v223, -v143
	v_add_u32_e32 v143, 0x1400, v205
	ds_read2_b64 v[153:156], v143 offset0:110 offset1:185
	v_mul_f32_e32 v158, v147, v224
	v_fmac_f32_e32 v158, v148, v223
	s_waitcnt vmcnt(3)
	v_mul_f32_e32 v147, v150, v226
	v_mul_f32_e32 v148, v149, v226
	v_fma_f32 v147, v149, v225, -v147
	v_fmac_f32_e32 v148, v150, v225
	ds_read_b64 v[149:150], v205 offset:7200
	ds_write2_b64 v152, v[157:158], v[147:148] offset0:88 offset1:163
	s_waitcnt vmcnt(2) lgkmcnt(2)
	v_mul_f32_e32 v148, v153, v228
	v_mul_f32_e32 v147, v154, v228
	v_fmac_f32_e32 v148, v154, v227
	s_waitcnt vmcnt(1)
	v_mul_f32_e32 v151, v156, v230
	v_mul_f32_e32 v154, v155, v230
	v_fma_f32 v147, v153, v227, -v147
	v_fma_f32 v153, v155, v229, -v151
	v_fmac_f32_e32 v154, v156, v229
	ds_write2_b64 v143, v[147:148], v[153:154] offset0:110 offset1:185
	s_waitcnt vmcnt(0) lgkmcnt(2)
	v_mul_f32_e32 v147, v150, v232
	v_mul_f32_e32 v148, v149, v232
	v_fma_f32 v147, v149, v231, -v147
	v_fmac_f32_e32 v148, v150, v231
	ds_write_b64 v205, v[147:148] offset:7200
	s_and_saveexec_b64 s[4:5], s[0:1]
	s_cbranch_execz .LBB0_13
; %bb.12:
	global_load_dwordx2 v[153:154], v[132:133], off offset:312
	ds_read2_b64 v[147:150], v205 offset0:39 offset1:114
	s_waitcnt vmcnt(0) lgkmcnt(0)
	v_mul_f32_e32 v151, v148, v154
	v_mul_f32_e32 v156, v147, v154
	v_fma_f32 v155, v147, v153, -v151
	v_fmac_f32_e32 v156, v148, v153
	global_load_dwordx2 v[147:148], v[132:133], off offset:912
	s_waitcnt vmcnt(0)
	v_mul_f32_e32 v151, v150, v148
	v_mul_f32_e32 v154, v149, v148
	v_fma_f32 v153, v149, v147, -v151
	v_fmac_f32_e32 v154, v150, v147
	ds_write2_b64 v205, v[155:156], v[153:154] offset0:39 offset1:114
	global_load_dwordx2 v[153:154], v[132:133], off offset:1512
	ds_read2_b64 v[147:150], v146 offset0:61 offset1:136
	s_waitcnt vmcnt(0) lgkmcnt(0)
	v_mul_f32_e32 v151, v148, v154
	v_mul_f32_e32 v156, v147, v154
	v_fma_f32 v155, v147, v153, -v151
	v_fmac_f32_e32 v156, v148, v153
	global_load_dwordx2 v[147:148], v[132:133], off offset:2112
	s_waitcnt vmcnt(0)
	v_mul_f32_e32 v151, v150, v148
	v_mul_f32_e32 v154, v149, v148
	v_fma_f32 v153, v149, v147, -v151
	v_fmac_f32_e32 v154, v150, v147
	global_load_dwordx2 v[150:151], v[132:133], off offset:2712
	ds_write2_b64 v146, v[155:156], v[153:154] offset0:61 offset1:136
	ds_read2_b64 v[146:149], v144 offset0:83 offset1:158
	s_waitcnt vmcnt(0) lgkmcnt(0)
	v_mul_f32_e32 v153, v147, v151
	v_mul_f32_e32 v154, v146, v151
	v_fma_f32 v153, v146, v150, -v153
	v_fmac_f32_e32 v154, v147, v150
	global_load_dwordx2 v[146:147], v[132:133], off offset:3312
	s_waitcnt vmcnt(0)
	v_mul_f32_e32 v150, v149, v147
	v_mul_f32_e32 v151, v148, v147
	v_fma_f32 v150, v148, v146, -v150
	v_fmac_f32_e32 v151, v149, v146
	ds_write2_b64 v144, v[153:154], v[150:151] offset0:83 offset1:158
	global_load_dwordx2 v[150:151], v[132:133], off offset:3912
	ds_read2_b64 v[146:149], v142 offset0:105 offset1:180
	v_add_co_u32_e32 v132, vcc, s13, v132
	v_addc_co_u32_e32 v133, vcc, 0, v133, vcc
	s_waitcnt vmcnt(0) lgkmcnt(0)
	v_mul_f32_e32 v153, v147, v151
	v_mul_f32_e32 v154, v146, v151
	v_fma_f32 v153, v146, v150, -v153
	v_fmac_f32_e32 v154, v147, v150
	global_load_dwordx2 v[146:147], v[132:133], off offset:416
	s_waitcnt vmcnt(0)
	v_mul_f32_e32 v150, v149, v147
	v_mul_f32_e32 v151, v148, v147
	v_fma_f32 v150, v148, v146, -v150
	v_fmac_f32_e32 v151, v149, v146
	ds_write2_b64 v142, v[153:154], v[150:151] offset0:105 offset1:180
	global_load_dwordx2 v[150:151], v[132:133], off offset:1016
	ds_read2_b64 v[146:149], v152 offset0:127 offset1:202
	s_waitcnt vmcnt(0) lgkmcnt(0)
	v_mul_f32_e32 v153, v147, v151
	v_mul_f32_e32 v154, v146, v151
	v_fma_f32 v153, v146, v150, -v153
	v_fmac_f32_e32 v154, v147, v150
	global_load_dwordx2 v[146:147], v[132:133], off offset:1616
	s_waitcnt vmcnt(0)
	v_mul_f32_e32 v150, v149, v147
	v_mul_f32_e32 v151, v148, v147
	v_fma_f32 v150, v148, v146, -v150
	v_fmac_f32_e32 v151, v149, v146
	ds_write2_b64 v152, v[153:154], v[150:151] offset0:127 offset1:202
	global_load_dwordx2 v[150:151], v[132:133], off offset:2216
	ds_read2_b64 v[146:149], v145 offset0:21 offset1:96
	s_waitcnt vmcnt(0) lgkmcnt(0)
	v_mul_f32_e32 v153, v147, v151
	v_mul_f32_e32 v154, v146, v151
	v_fma_f32 v153, v146, v150, -v153
	v_fmac_f32_e32 v154, v147, v150
	global_load_dwordx2 v[146:147], v[132:133], off offset:2816
	s_waitcnt vmcnt(0)
	v_mul_f32_e32 v150, v149, v147
	global_load_dwordx2 v[132:133], v[132:133], off offset:3416
	v_mul_f32_e32 v151, v148, v147
	v_fma_f32 v150, v148, v146, -v150
	v_fmac_f32_e32 v151, v149, v146
	ds_write2_b64 v145, v[153:154], v[150:151] offset0:21 offset1:96
	ds_read_b64 v[145:146], v205 offset:7512
	s_waitcnt vmcnt(0) lgkmcnt(0)
	v_mul_f32_e32 v147, v146, v133
	v_mul_f32_e32 v148, v145, v133
	v_fma_f32 v147, v145, v132, -v147
	v_fmac_f32_e32 v148, v146, v132
	ds_write_b64 v205, v[147:148] offset:7512
.LBB0_13:
	s_or_b64 exec, exec, s[4:5]
	s_waitcnt lgkmcnt(0)
	s_barrier
	ds_read2_b64 v[164:167], v205 offset1:75
	ds_read2_b64 v[156:159], v205 offset0:150 offset1:225
	ds_read2_b64 v[148:151], v144 offset0:44 offset1:119
	;; [unrolled: 1-line block ×5, first 2 shown]
	ds_read_b64 v[203:204], v205 offset:7200
	s_and_saveexec_b64 s[4:5], s[0:1]
	s_cbranch_execz .LBB0_15
; %bb.14:
	v_lshl_add_u32 v116, v185, 3, v171
	v_add_u32_e32 v117, 0x800, v116
	ds_read_b64 v[201:202], v205 offset:312
	ds_read2_b64 v[122:125], v116 offset0:114 offset1:189
	ds_read2_b64 v[128:131], v117 offset0:8 offset1:83
	ds_read2_b64 v[132:135], v117 offset0:158 offset1:233
	v_add_u32_e32 v117, 0x1400, v116
	ds_read2_b64 v[140:143], v117 offset0:74 offset1:149
	v_add_u32_e32 v117, 0x1000, v116
	v_add_u32_e32 v116, 0x1800, v116
	ds_read2_b64 v[136:139], v117 offset0:52 offset1:127
	ds_read2_b64 v[116:119], v116 offset0:96 offset1:171
	s_waitcnt lgkmcnt(2)
	v_mov_b32_e32 v120, v142
	v_mov_b32_e32 v121, v143
	;; [unrolled: 1-line block ×4, first 2 shown]
.LBB0_15:
	s_or_b64 exec, exec, s[4:5]
	s_waitcnt lgkmcnt(6)
	v_add_f32_e32 v133, v165, v167
	s_waitcnt lgkmcnt(5)
	v_add_f32_e32 v133, v133, v157
	v_add_f32_e32 v132, v164, v166
	v_add_f32_e32 v133, v133, v159
	v_add_f32_e32 v132, v132, v156
	s_waitcnt lgkmcnt(4)
	v_add_f32_e32 v133, v133, v149
	v_add_f32_e32 v132, v132, v158
	v_add_f32_e32 v133, v133, v151
	;; [unrolled: 5-line block ×6, first 2 shown]
	v_sub_f32_e32 v167, v167, v204
	v_mul_f32_e32 v221, 0x3f62ad3f, v133
	v_mul_f32_e32 v225, 0x3f116cb1, v133
	;; [unrolled: 1-line block ×6, first 2 shown]
	v_add_f32_e32 v142, v132, v203
	v_add_f32_e32 v132, v203, v166
	v_sub_f32_e32 v166, v166, v203
	v_mul_f32_e32 v203, 0xbeedf032, v167
	v_mov_b32_e32 v222, v221
	v_mul_f32_e32 v223, 0xbf52af12, v167
	v_mov_b32_e32 v226, v225
	;; [unrolled: 2-line block ×6, first 2 shown]
	s_mov_b32 s6, 0x3f62ad3f
	v_mov_b32_e32 v204, v203
	v_fmac_f32_e32 v222, 0x3eedf032, v166
	v_fmac_f32_e32 v221, 0xbeedf032, v166
	s_mov_b32 s7, 0x3f116cb1
	v_mov_b32_e32 v224, v223
	v_fmac_f32_e32 v226, 0x3f52af12, v166
	v_fmac_f32_e32 v225, 0xbf52af12, v166
	;; [unrolled: 4-line block ×6, first 2 shown]
	v_fmac_f32_e32 v204, 0x3f62ad3f, v132
	v_add_f32_e32 v222, v165, v222
	v_fma_f32 v203, v132, s6, -v203
	v_add_f32_e32 v221, v165, v221
	v_fmac_f32_e32 v224, 0x3f116cb1, v132
	v_add_f32_e32 v226, v165, v226
	v_fma_f32 v223, v132, s7, -v223
	v_add_f32_e32 v225, v165, v225
	;; [unrolled: 4-line block ×6, first 2 shown]
	v_add_f32_e32 v165, v163, v157
	v_sub_f32_e32 v157, v157, v163
	v_add_f32_e32 v204, v164, v204
	v_add_f32_e32 v203, v164, v203
	;; [unrolled: 1-line block ×13, first 2 shown]
	v_sub_f32_e32 v156, v156, v162
	v_mul_f32_e32 v162, 0xbf52af12, v157
	v_mov_b32_e32 v163, v162
	v_fma_f32 v162, v164, s7, -v162
	v_fmac_f32_e32 v163, 0x3f116cb1, v164
	v_mul_f32_e32 v166, 0x3f116cb1, v165
	v_add_f32_e32 v162, v162, v203
	v_mul_f32_e32 v203, 0xbf6f5d39, v157
	v_add_f32_e32 v163, v163, v204
	v_mov_b32_e32 v167, v166
	v_fmac_f32_e32 v166, 0xbf52af12, v156
	v_mov_b32_e32 v204, v203
	v_fma_f32 v203, v164, s13, -v203
	v_fmac_f32_e32 v167, 0x3f52af12, v156
	v_add_f32_e32 v166, v166, v221
	v_fmac_f32_e32 v204, 0xbeb58ec6, v164
	v_mul_f32_e32 v221, 0xbeb58ec6, v165
	v_add_f32_e32 v203, v203, v223
	v_mul_f32_e32 v223, 0xbe750f2a, v157
	v_add_f32_e32 v167, v167, v222
	v_add_f32_e32 v204, v204, v224
	v_mov_b32_e32 v222, v221
	v_fmac_f32_e32 v221, 0xbf6f5d39, v156
	v_mov_b32_e32 v224, v223
	v_fma_f32 v223, v164, s17, -v223
	v_fmac_f32_e32 v222, 0x3f6f5d39, v156
	v_add_f32_e32 v221, v221, v225
	v_fmac_f32_e32 v224, 0xbf788fa5, v164
	v_mul_f32_e32 v225, 0xbf788fa5, v165
	v_add_f32_e32 v223, v223, v227
	v_mul_f32_e32 v227, 0x3f29c268, v157
	v_add_f32_e32 v222, v222, v226
	;; [unrolled: 12-line block ×3, first 2 shown]
	v_add_f32_e32 v228, v228, v232
	v_mov_b32_e32 v230, v229
	v_fmac_f32_e32 v229, 0x3f29c268, v156
	v_mov_b32_e32 v232, v231
	v_fma_f32 v231, v164, s12, -v231
	v_mul_f32_e32 v157, 0x3eedf032, v157
	v_fmac_f32_e32 v230, 0xbf29c268, v156
	v_add_f32_e32 v229, v229, v233
	v_fmac_f32_e32 v232, 0x3df6dbef, v164
	v_mul_f32_e32 v233, 0x3df6dbef, v165
	v_add_f32_e32 v231, v231, v235
	v_mov_b32_e32 v235, v157
	v_mul_f32_e32 v165, 0x3f62ad3f, v165
	v_fma_f32 v157, v164, s6, -v157
	v_add_f32_e32 v230, v230, v234
	v_add_f32_e32 v232, v232, v236
	v_mov_b32_e32 v234, v233
	v_mov_b32_e32 v236, v165
	v_add_f32_e32 v132, v157, v132
	v_add_f32_e32 v157, v161, v159
	v_sub_f32_e32 v159, v159, v161
	v_fmac_f32_e32 v234, 0xbf7e222b, v156
	v_fmac_f32_e32 v233, 0x3f7e222b, v156
	;; [unrolled: 1-line block ×4, first 2 shown]
	v_add_f32_e32 v156, v160, v158
	v_sub_f32_e32 v158, v158, v160
	v_mul_f32_e32 v160, 0xbf7e222b, v159
	v_mov_b32_e32 v161, v160
	v_fmac_f32_e32 v161, 0x3df6dbef, v156
	v_add_f32_e32 v161, v161, v163
	v_mul_f32_e32 v163, 0x3df6dbef, v157
	v_fmac_f32_e32 v235, 0x3f62ad3f, v164
	v_mov_b32_e32 v164, v163
	v_fma_f32 v160, v156, s12, -v160
	v_fmac_f32_e32 v163, 0xbf7e222b, v158
	v_add_f32_e32 v160, v160, v162
	v_add_f32_e32 v162, v163, v166
	v_mul_f32_e32 v163, 0xbe750f2a, v159
	v_add_f32_e32 v133, v165, v133
	v_mov_b32_e32 v165, v163
	v_fma_f32 v163, v156, s17, -v163
	v_fmac_f32_e32 v164, 0x3f7e222b, v158
	v_fmac_f32_e32 v165, 0xbf788fa5, v156
	v_mul_f32_e32 v166, 0xbf788fa5, v157
	v_add_f32_e32 v163, v163, v203
	v_mul_f32_e32 v203, 0x3f6f5d39, v159
	v_add_f32_e32 v164, v164, v167
	v_add_f32_e32 v165, v165, v204
	v_mov_b32_e32 v167, v166
	v_fmac_f32_e32 v166, 0xbe750f2a, v158
	v_mov_b32_e32 v204, v203
	v_fma_f32 v203, v156, s13, -v203
	v_fmac_f32_e32 v167, 0x3e750f2a, v158
	v_add_f32_e32 v166, v166, v221
	v_fmac_f32_e32 v204, 0xbeb58ec6, v156
	v_mul_f32_e32 v221, 0xbeb58ec6, v157
	v_add_f32_e32 v203, v203, v223
	v_mul_f32_e32 v223, 0x3eedf032, v159
	v_add_f32_e32 v167, v167, v222
	v_add_f32_e32 v204, v204, v224
	v_mov_b32_e32 v222, v221
	v_fmac_f32_e32 v221, 0x3f6f5d39, v158
	v_mov_b32_e32 v224, v223
	v_fma_f32 v223, v156, s6, -v223
	v_fmac_f32_e32 v222, 0xbf6f5d39, v158
	v_add_f32_e32 v221, v221, v225
	v_fmac_f32_e32 v224, 0x3f62ad3f, v156
	v_mul_f32_e32 v225, 0x3f62ad3f, v157
	v_add_f32_e32 v223, v223, v227
	v_mul_f32_e32 v227, 0xbf52af12, v159
	v_add_f32_e32 v222, v222, v226
	v_add_f32_e32 v224, v224, v228
	v_mov_b32_e32 v226, v225
	v_fmac_f32_e32 v225, 0x3eedf032, v158
	v_mov_b32_e32 v228, v227
	v_add_f32_e32 v225, v225, v229
	v_fmac_f32_e32 v228, 0x3f116cb1, v156
	v_mul_f32_e32 v229, 0x3f116cb1, v157
	v_fma_f32 v227, v156, s7, -v227
	v_mul_f32_e32 v159, 0xbf29c268, v159
	v_mul_f32_e32 v157, 0xbf3f9e67, v157
	v_add_f32_e32 v228, v228, v232
	v_add_f32_e32 v227, v227, v231
	v_mov_b32_e32 v231, v159
	v_mov_b32_e32 v232, v157
	v_fmac_f32_e32 v157, 0xbf29c268, v158
	v_fmac_f32_e32 v231, 0xbf3f9e67, v156
	v_fma_f32 v156, v156, s16, -v159
	v_add_f32_e32 v133, v157, v133
	v_add_f32_e32 v157, v155, v149
	v_sub_f32_e32 v149, v149, v155
	v_fmac_f32_e32 v226, 0xbeedf032, v158
	v_add_f32_e32 v132, v156, v132
	v_add_f32_e32 v156, v154, v148
	v_sub_f32_e32 v148, v148, v154
	v_mul_f32_e32 v154, 0xbf6f5d39, v149
	v_add_f32_e32 v226, v226, v230
	v_mov_b32_e32 v230, v229
	v_mov_b32_e32 v155, v154
	v_fma_f32 v154, v156, s13, -v154
	v_fmac_f32_e32 v230, 0x3f52af12, v158
	v_fmac_f32_e32 v229, 0xbf52af12, v158
	;; [unrolled: 1-line block ×4, first 2 shown]
	v_mul_f32_e32 v158, 0xbeb58ec6, v157
	v_add_f32_e32 v154, v154, v160
	v_mul_f32_e32 v160, 0x3f29c268, v149
	v_add_f32_e32 v155, v155, v161
	v_mov_b32_e32 v159, v158
	v_fmac_f32_e32 v158, 0xbf6f5d39, v148
	v_mov_b32_e32 v161, v160
	v_fma_f32 v160, v156, s16, -v160
	v_fmac_f32_e32 v159, 0x3f6f5d39, v148
	v_add_f32_e32 v158, v158, v162
	v_fmac_f32_e32 v161, 0xbf3f9e67, v156
	v_mul_f32_e32 v162, 0xbf3f9e67, v157
	v_add_f32_e32 v160, v160, v163
	v_mul_f32_e32 v163, 0x3eedf032, v149
	v_add_f32_e32 v159, v159, v164
	v_add_f32_e32 v161, v161, v165
	v_mov_b32_e32 v164, v162
	v_fmac_f32_e32 v162, 0x3f29c268, v148
	v_mov_b32_e32 v165, v163
	v_fma_f32 v163, v156, s6, -v163
	v_fmac_f32_e32 v164, 0xbf29c268, v148
	v_add_f32_e32 v162, v162, v166
	v_fmac_f32_e32 v165, 0x3f62ad3f, v156
	v_mul_f32_e32 v166, 0x3f62ad3f, v157
	v_add_f32_e32 v163, v163, v203
	v_mul_f32_e32 v203, 0xbf7e222b, v149
	v_add_f32_e32 v164, v164, v167
	;; [unrolled: 12-line block ×3, first 2 shown]
	v_add_f32_e32 v204, v204, v224
	v_mov_b32_e32 v222, v221
	v_fmac_f32_e32 v221, 0xbf7e222b, v148
	v_mov_b32_e32 v224, v223
	v_fma_f32 v223, v156, s17, -v223
	v_mul_f32_e32 v149, 0x3f52af12, v149
	v_fmac_f32_e32 v222, 0x3f7e222b, v148
	v_add_f32_e32 v221, v221, v225
	v_fmac_f32_e32 v224, 0xbf788fa5, v156
	v_mul_f32_e32 v225, 0xbf788fa5, v157
	v_add_f32_e32 v223, v223, v227
	v_mov_b32_e32 v227, v149
	v_mul_f32_e32 v157, 0x3f116cb1, v157
	v_fma_f32 v149, v156, s7, -v149
	v_add_f32_e32 v222, v222, v226
	v_add_f32_e32 v224, v224, v228
	v_mov_b32_e32 v226, v225
	v_mov_b32_e32 v228, v157
	v_add_f32_e32 v132, v149, v132
	v_add_f32_e32 v149, v153, v151
	v_sub_f32_e32 v151, v151, v153
	v_fmac_f32_e32 v226, 0xbe750f2a, v148
	v_fmac_f32_e32 v225, 0x3e750f2a, v148
	v_fmac_f32_e32 v228, 0xbf52af12, v148
	v_fmac_f32_e32 v157, 0x3f52af12, v148
	v_add_f32_e32 v148, v152, v150
	v_sub_f32_e32 v150, v150, v152
	v_mul_f32_e32 v152, 0xbf29c268, v151
	v_mov_b32_e32 v153, v152
	v_fmac_f32_e32 v153, 0xbf3f9e67, v148
	v_add_f32_e32 v153, v153, v155
	v_mul_f32_e32 v155, 0xbf3f9e67, v149
	v_fmac_f32_e32 v227, 0x3f116cb1, v156
	v_mov_b32_e32 v156, v155
	v_fma_f32 v152, v148, s16, -v152
	v_fmac_f32_e32 v155, 0xbf29c268, v150
	v_add_f32_e32 v152, v152, v154
	v_add_f32_e32 v154, v155, v158
	v_mul_f32_e32 v155, 0x3f7e222b, v151
	v_add_f32_e32 v133, v157, v133
	v_mov_b32_e32 v157, v155
	v_fma_f32 v155, v148, s12, -v155
	v_fmac_f32_e32 v156, 0x3f29c268, v150
	v_fmac_f32_e32 v157, 0x3df6dbef, v148
	v_mul_f32_e32 v158, 0x3df6dbef, v149
	v_add_f32_e32 v155, v155, v160
	v_mul_f32_e32 v160, 0xbf52af12, v151
	v_add_f32_e32 v156, v156, v159
	v_add_f32_e32 v157, v157, v161
	v_mov_b32_e32 v159, v158
	v_fmac_f32_e32 v158, 0x3f7e222b, v150
	v_mov_b32_e32 v161, v160
	v_fma_f32 v160, v148, s7, -v160
	v_fmac_f32_e32 v159, 0xbf7e222b, v150
	v_add_f32_e32 v158, v158, v162
	v_fmac_f32_e32 v161, 0x3f116cb1, v148
	v_mul_f32_e32 v162, 0x3f116cb1, v149
	v_add_f32_e32 v160, v160, v163
	v_mul_f32_e32 v163, 0x3e750f2a, v151
	v_add_f32_e32 v159, v159, v164
	v_add_f32_e32 v161, v161, v165
	v_mov_b32_e32 v164, v162
	v_fmac_f32_e32 v162, 0xbf52af12, v150
	v_mov_b32_e32 v165, v163
	v_fma_f32 v163, v148, s17, -v163
	v_fmac_f32_e32 v164, 0x3f52af12, v150
	v_add_f32_e32 v162, v162, v166
	v_fmac_f32_e32 v165, 0xbf788fa5, v148
	v_mul_f32_e32 v166, 0xbf788fa5, v149
	v_add_f32_e32 v163, v163, v203
	v_mul_f32_e32 v203, 0x3eedf032, v151
	v_add_f32_e32 v164, v164, v167
	v_add_f32_e32 v165, v165, v204
	v_mov_b32_e32 v167, v166
	v_fmac_f32_e32 v166, 0x3e750f2a, v150
	v_mov_b32_e32 v204, v203
	v_add_f32_e32 v166, v166, v221
	v_fmac_f32_e32 v204, 0x3f62ad3f, v148
	v_mul_f32_e32 v221, 0x3f62ad3f, v149
	v_fma_f32 v203, v148, s6, -v203
	v_mul_f32_e32 v151, 0xbf6f5d39, v151
	v_mul_f32_e32 v149, 0xbeb58ec6, v149
	v_add_f32_e32 v204, v204, v224
	v_add_f32_e32 v203, v203, v223
	v_mov_b32_e32 v223, v151
	v_mov_b32_e32 v224, v149
	v_fmac_f32_e32 v149, 0xbf6f5d39, v150
	v_fmac_f32_e32 v223, 0xbeb58ec6, v148
	v_fma_f32 v148, v148, s13, -v151
	v_add_f32_e32 v133, v149, v133
	v_add_f32_e32 v149, v147, v145
	v_sub_f32_e32 v145, v145, v147
	v_add_f32_e32 v132, v148, v132
	v_add_f32_e32 v148, v146, v144
	v_sub_f32_e32 v144, v144, v146
	v_mul_f32_e32 v146, 0xbe750f2a, v145
	v_add_f32_e32 v235, v235, v239
	v_mov_b32_e32 v147, v146
	v_add_f32_e32 v231, v231, v235
	v_fmac_f32_e32 v167, 0xbe750f2a, v150
	v_fmac_f32_e32 v147, 0xbf788fa5, v148
	v_add_f32_e32 v233, v233, v237
	v_add_f32_e32 v227, v227, v231
	;; [unrolled: 1-line block ×3, first 2 shown]
	v_mov_b32_e32 v222, v221
	v_add_f32_e32 v231, v147, v153
	v_mul_f32_e32 v147, 0xbf788fa5, v149
	v_fma_f32 v146, v148, s17, -v146
	v_add_f32_e32 v234, v234, v238
	v_add_f32_e32 v229, v229, v233
	v_fmac_f32_e32 v222, 0xbeedf032, v150
	v_fmac_f32_e32 v221, 0x3eedf032, v150
	;; [unrolled: 1-line block ×3, first 2 shown]
	v_mov_b32_e32 v150, v147
	v_add_f32_e32 v233, v146, v152
	v_fmac_f32_e32 v147, 0xbe750f2a, v144
	v_mul_f32_e32 v146, 0x3eedf032, v145
	v_add_f32_e32 v230, v230, v234
	v_add_f32_e32 v234, v147, v154
	v_mov_b32_e32 v147, v146
	v_add_f32_e32 v236, v236, v240
	v_fmac_f32_e32 v147, 0x3f62ad3f, v148
	v_add_f32_e32 v232, v232, v236
	v_fmac_f32_e32 v150, 0x3e750f2a, v144
	v_add_f32_e32 v235, v147, v157
	v_mul_f32_e32 v147, 0x3f62ad3f, v149
	v_fma_f32 v146, v148, s6, -v146
	v_add_f32_e32 v228, v228, v232
	v_add_f32_e32 v232, v150, v156
	v_mov_b32_e32 v150, v147
	v_add_f32_e32 v237, v146, v155
	v_fmac_f32_e32 v147, 0x3eedf032, v144
	v_mul_f32_e32 v146, 0xbf29c268, v145
	v_add_f32_e32 v238, v147, v158
	v_mov_b32_e32 v147, v146
	v_fmac_f32_e32 v147, 0xbf3f9e67, v148
	v_fmac_f32_e32 v150, 0xbeedf032, v144
	v_add_f32_e32 v239, v147, v161
	v_mul_f32_e32 v147, 0xbf3f9e67, v149
	v_fma_f32 v146, v148, s16, -v146
	v_add_f32_e32 v236, v150, v159
	v_mov_b32_e32 v150, v147
	v_add_f32_e32 v241, v146, v160
	v_fmac_f32_e32 v147, 0xbf29c268, v144
	v_mul_f32_e32 v146, 0x3f52af12, v145
	v_add_f32_e32 v242, v147, v162
	v_mov_b32_e32 v147, v146
	v_fmac_f32_e32 v147, 0x3f116cb1, v148
	v_fmac_f32_e32 v150, 0x3f29c268, v144
	v_add_f32_e32 v243, v147, v165
	v_mul_f32_e32 v147, 0x3f116cb1, v149
	v_fma_f32 v146, v148, s7, -v146
	v_add_f32_e32 v240, v150, v164
	v_mov_b32_e32 v150, v147
	v_add_f32_e32 v245, v146, v163
	v_fmac_f32_e32 v147, 0x3f52af12, v144
	v_mul_f32_e32 v146, 0xbf6f5d39, v145
	v_add_f32_e32 v246, v147, v166
	v_mov_b32_e32 v147, v146
	v_fma_f32 v146, v148, s13, -v146
	v_mul_f32_e32 v145, 0x3f7e222b, v145
	v_fmac_f32_e32 v147, 0xbeb58ec6, v148
	v_add_f32_e32 v249, v146, v203
	v_mov_b32_e32 v146, v145
	v_add_f32_e32 v225, v225, v229
	v_add_f32_e32 v223, v223, v227
	v_fmac_f32_e32 v150, 0xbf52af12, v144
	v_add_f32_e32 v247, v147, v204
	v_mul_f32_e32 v147, 0xbeb58ec6, v149
	v_fmac_f32_e32 v146, 0x3df6dbef, v148
	v_add_f32_e32 v226, v226, v230
	v_add_f32_e32 v221, v221, v225
	;; [unrolled: 1-line block ×3, first 2 shown]
	v_mov_b32_e32 v150, v147
	v_fmac_f32_e32 v147, 0xbf6f5d39, v144
	v_add_f32_e32 v251, v146, v223
	v_mul_f32_e32 v146, 0x3df6dbef, v149
	v_add_f32_e32 v222, v222, v226
	v_fmac_f32_e32 v150, 0x3f6f5d39, v144
	v_add_f32_e32 v250, v147, v221
	v_mov_b32_e32 v147, v146
	v_sub_f32_e32 v163, v123, v119
	v_add_f32_e32 v248, v150, v222
	v_fmac_f32_e32 v147, 0xbf7e222b, v144
	v_fma_f32 v145, v148, s12, -v145
	v_fmac_f32_e32 v146, 0x3f7e222b, v144
	v_add_f32_e32 v144, v118, v122
	v_add_f32_e32 v222, v119, v123
	v_mul_f32_e32 v156, 0xbeedf032, v163
	v_sub_f32_e32 v166, v125, v117
	v_add_f32_e32 v224, v224, v228
	v_add_f32_e32 v253, v145, v132
	v_mul_f32_e32 v158, 0x3f62ad3f, v222
	v_fma_f32 v132, v144, s6, -v156
	v_add_f32_e32 v145, v116, v124
	v_add_f32_e32 v225, v117, v125
	v_mul_f32_e32 v157, 0xbf52af12, v166
	v_add_f32_e32 v252, v147, v224
	v_add_f32_e32 v254, v146, v133
	v_sub_f32_e32 v147, v122, v118
	v_add_f32_e32 v132, v201, v132
	v_mov_b32_e32 v133, v158
	v_mul_f32_e32 v160, 0x3f116cb1, v225
	v_fma_f32 v146, v145, s7, -v157
	v_fmac_f32_e32 v133, 0xbeedf032, v147
	v_sub_f32_e32 v148, v124, v116
	v_add_f32_e32 v132, v146, v132
	v_mov_b32_e32 v146, v160
	v_add_f32_e32 v133, v202, v133
	v_fmac_f32_e32 v146, 0xbf52af12, v148
	v_sub_f32_e32 v203, v129, v121
	v_add_f32_e32 v133, v146, v133
	v_add_f32_e32 v146, v120, v128
	v_add_f32_e32 v227, v121, v129
	v_mul_f32_e32 v159, 0xbf7e222b, v203
	v_mul_f32_e32 v162, 0x3df6dbef, v227
	v_fma_f32 v149, v146, s12, -v159
	v_sub_f32_e32 v150, v128, v120
	v_add_f32_e32 v132, v149, v132
	v_mov_b32_e32 v149, v162
	v_fmac_f32_e32 v149, 0xbf7e222b, v150
	v_sub_f32_e32 v221, v131, v141
	v_add_f32_e32 v133, v149, v133
	v_add_f32_e32 v149, v140, v130
	v_add_f32_e32 v228, v141, v131
	v_mul_f32_e32 v213, 0xbf6f5d39, v221
	v_mul_f32_e32 v170, 0xbeb58ec6, v228
	v_fma_f32 v151, v149, s13, -v213
	v_sub_f32_e32 v152, v130, v140
	v_add_f32_e32 v132, v151, v132
	v_mov_b32_e32 v151, v170
	;; [unrolled: 11-line block ×4, first 2 shown]
	v_fmac_f32_e32 v255, 0xbe750f2a, v155
	v_add_f32_e32 v133, v255, v133
	s_barrier
	ds_write2_b64 v182, v[142:143], v[231:232] offset1:1
	ds_write2_b64 v182, v[235:236], v[239:240] offset0:2 offset1:3
	ds_write2_b64 v182, v[243:244], v[247:248] offset0:4 offset1:5
	;; [unrolled: 1-line block ×5, first 2 shown]
	ds_write_b64 v182, v[233:234] offset:96
	s_and_saveexec_b64 s[4:5], s[0:1]
	s_cbranch_execz .LBB0_17
; %bb.16:
	v_mul_f32_e32 v248, 0xbf788fa5, v222
	v_mov_b32_e32 v142, v248
	v_mul_f32_e32 v249, 0x3f62ad3f, v225
	v_fmac_f32_e32 v142, 0x3e750f2a, v147
	v_mov_b32_e32 v143, v249
	v_add_f32_e32 v142, v202, v142
	v_fmac_f32_e32 v143, 0xbeedf032, v148
	v_mul_f32_e32 v250, 0xbf3f9e67, v227
	v_add_f32_e32 v142, v143, v142
	v_mov_b32_e32 v143, v250
	v_fmac_f32_e32 v143, 0x3f29c268, v150
	v_mul_f32_e32 v251, 0x3f116cb1, v228
	v_add_f32_e32 v142, v143, v142
	v_mov_b32_e32 v143, v251
	;; [unrolled: 4-line block ×4, first 2 shown]
	v_fmac_f32_e32 v143, 0xbf7e222b, v155
	v_add_f32_e32 v143, v143, v142
	v_mul_f32_e32 v142, 0xbe750f2a, v163
	buffer_store_dword v142, off, s[24:27], 0 offset:100 ; 4-byte Folded Spill
	v_fmac_f32_e32 v142, 0xbf788fa5, v144
	v_mul_f32_e32 v231, 0x3eedf032, v166
	v_add_f32_e32 v142, v201, v142
	buffer_store_dword v231, off, s[24:27], 0 offset:104 ; 4-byte Folded Spill
	v_fmac_f32_e32 v231, 0x3f62ad3f, v145
	v_add_f32_e32 v142, v231, v142
	v_mul_f32_e32 v231, 0xbf29c268, v203
	buffer_store_dword v231, off, s[24:27], 0 offset:108 ; 4-byte Folded Spill
	v_fmac_f32_e32 v231, 0xbf3f9e67, v146
	v_add_f32_e32 v142, v231, v142
	v_mul_f32_e32 v231, 0x3f52af12, v221
	;; [unrolled: 4-line block ×3, first 2 shown]
	buffer_store_dword v231, off, s[24:27], 0 offset:116 ; 4-byte Folded Spill
	v_fmac_f32_e32 v231, 0xbeb58ec6, v151
	v_mul_f32_e32 v247, 0x3f7e222b, v226
	v_mov_b32_e32 v238, v217
	v_add_f32_e32 v142, v231, v142
	v_mov_b32_e32 v231, v247
	v_mov_b32_e32 v237, v216
	v_fmac_f32_e32 v231, 0x3df6dbef, v153
	v_mul_f32_e32 v216, 0xbf3f9e67, v222
	v_add_f32_e32 v142, v231, v142
	v_mov_b32_e32 v231, v216
	v_mul_f32_e32 v217, 0x3df6dbef, v225
	v_fmac_f32_e32 v231, 0x3f29c268, v147
	v_mov_b32_e32 v232, v217
	buffer_store_dword v142, off, s[24:27], 0 offset:68 ; 4-byte Folded Spill
	s_nop 0
	buffer_store_dword v143, off, s[24:27], 0 offset:72 ; 4-byte Folded Spill
	v_add_f32_e32 v231, v202, v231
	v_fmac_f32_e32 v232, 0xbf7e222b, v148
	buffer_store_dword v218, off, s[24:27], 0 offset:60 ; 4-byte Folded Spill
	v_mul_f32_e32 v218, 0x3f116cb1, v227
	v_add_f32_e32 v231, v232, v231
	v_mov_b32_e32 v232, v218
	v_fmac_f32_e32 v232, 0x3f52af12, v150
	buffer_store_dword v219, off, s[24:27], 0 offset:64 ; 4-byte Folded Spill
	v_mul_f32_e32 v219, 0xbf788fa5, v228
	v_add_f32_e32 v231, v232, v231
	v_mov_b32_e32 v232, v219
	buffer_store_dword v168, off, s[24:27], 0 offset:36 ; 4-byte Folded Spill
	buffer_store_dword v169, off, s[24:27], 0 offset:40 ; 4-byte Folded Spill
	v_mov_b32_e32 v168, v208
	v_fmac_f32_e32 v232, 0xbe750f2a, v152
	v_mov_b32_e32 v169, v209
	v_mul_f32_e32 v209, 0x3f62ad3f, v229
	v_add_f32_e32 v231, v232, v231
	v_mov_b32_e32 v232, v209
	v_fmac_f32_e32 v232, 0xbeedf032, v154
	buffer_store_dword v210, off, s[24:27], 0 offset:48 ; 4-byte Folded Spill
	v_mul_f32_e32 v210, 0xbeb58ec6, v230
	v_add_f32_e32 v231, v232, v231
	v_mov_b32_e32 v232, v210
	v_fmac_f32_e32 v232, 0x3f6f5d39, v155
	v_mul_f32_e32 v242, 0xbf29c268, v163
	v_add_f32_e32 v165, v232, v231
	v_mov_b32_e32 v231, v242
	v_mul_f32_e32 v240, 0x3f7e222b, v166
	v_fmac_f32_e32 v231, 0xbf3f9e67, v144
	v_mov_b32_e32 v233, v240
	v_add_f32_e32 v231, v201, v231
	v_fmac_f32_e32 v233, 0x3df6dbef, v145
	v_mul_f32_e32 v143, 0xbf52af12, v203
	v_add_f32_e32 v231, v233, v231
	v_mov_b32_e32 v233, v143
	v_mul_f32_e32 v239, 0x3e750f2a, v221
	v_fmac_f32_e32 v233, 0x3f116cb1, v146
	buffer_store_dword v171, off, s[24:27], 0 offset:84 ; 4-byte Folded Spill
	v_mov_b32_e32 v171, v239
	v_mul_f32_e32 v142, 0x3eedf032, v224
	v_add_f32_e32 v231, v233, v231
	v_fmac_f32_e32 v171, 0xbf788fa5, v149
	buffer_store_dword v142, off, s[24:27], 0 offset:120 ; 4-byte Folded Spill
	buffer_store_dword v173, off, s[24:27], 0 offset:88 ; 4-byte Folded Spill
	v_mov_b32_e32 v173, v142
	v_mul_f32_e32 v246, 0xbf6f5d39, v226
	v_add_f32_e32 v171, v171, v231
	v_fmac_f32_e32 v173, 0x3f62ad3f, v151
	v_mov_b32_e32 v231, v246
	v_add_f32_e32 v123, v123, v202
	v_add_f32_e32 v171, v173, v171
	v_fmac_f32_e32 v231, 0xbeb58ec6, v153
	v_add_f32_e32 v123, v125, v123
	v_add_f32_e32 v164, v231, v171
	v_mul_f32_e32 v171, 0xbeb58ec6, v222
	v_add_f32_e32 v123, v129, v123
	buffer_store_dword v164, off, s[24:27], 0 offset:76 ; 4-byte Folded Spill
	s_nop 0
	buffer_store_dword v165, off, s[24:27], 0 offset:80 ; 4-byte Folded Spill
	v_mov_b32_e32 v233, v171
	buffer_store_dword v174, off, s[24:27], 0 offset:16 ; 4-byte Folded Spill
	v_mul_f32_e32 v174, 0xbf3f9e67, v225
	buffer_store_dword v207, off, s[24:27], 0 offset:32 ; 4-byte Folded Spill
	v_mov_b32_e32 v208, v176
	v_add_f32_e32 v123, v131, v123
	v_fmac_f32_e32 v233, 0x3f6f5d39, v147
	v_mov_b32_e32 v207, v175
	v_mov_b32_e32 v175, v174
	v_mul_f32_e32 v176, 0x3f62ad3f, v227
	buffer_store_dword v214, off, s[24:27], 0 offset:52 ; 4-byte Folded Spill
	buffer_store_dword v215, off, s[24:27], 0 offset:56 ; 4-byte Folded Spill
	v_mov_b32_e32 v215, v178
	v_add_f32_e32 v123, v127, v123
	v_add_f32_e32 v233, v202, v233
	v_fmac_f32_e32 v175, 0xbf29c268, v148
	v_mov_b32_e32 v214, v177
	v_mov_b32_e32 v177, v176
	v_add_f32_e32 v123, v135, v123
	v_add_f32_e32 v175, v175, v233
	v_fmac_f32_e32 v177, 0xbeedf032, v150
	v_add_f32_e32 v123, v137, v123
	v_add_f32_e32 v175, v177, v175
	v_mul_f32_e32 v177, 0x3df6dbef, v228
	v_add_f32_e32 v123, v139, v123
	v_mov_b32_e32 v233, v177
	v_mul_f32_e32 v178, 0xbf788fa5, v229
	v_mov_b32_e32 v161, v185
	buffer_store_dword v186, off, s[24:27], 0 offset:44 ; 4-byte Folded Spill
	v_mov_b32_e32 v186, v180
	v_add_f32_e32 v123, v141, v123
	v_fmac_f32_e32 v233, 0x3f7e222b, v152
	v_mov_b32_e32 v185, v179
	v_mov_b32_e32 v179, v178
	v_add_f32_e32 v121, v121, v123
	v_add_f32_e32 v175, v233, v175
	v_fmac_f32_e32 v179, 0xbe750f2a, v154
	v_add_f32_e32 v117, v117, v121
	v_add_f32_e32 v175, v179, v175
	v_mul_f32_e32 v179, 0x3f116cb1, v230
	v_add_f32_e32 v117, v119, v117
	v_add_f32_e32 v119, v122, v201
	v_mov_b32_e32 v233, v179
	v_add_f32_e32 v119, v124, v119
	v_fmac_f32_e32 v233, 0xbf52af12, v155
	v_add_f32_e32 v119, v128, v119
	v_add_f32_e32 v165, v233, v175
	v_mul_f32_e32 v175, 0xbf6f5d39, v163
	v_add_f32_e32 v119, v130, v119
	v_mov_b32_e32 v233, v175
	v_mul_f32_e32 v180, 0x3f29c268, v166
	v_add_f32_e32 v119, v126, v119
	v_fmac_f32_e32 v233, 0xbeb58ec6, v144
	v_mov_b32_e32 v142, v181
	v_mov_b32_e32 v181, v180
	v_mul_f32_e32 v173, 0x3eedf032, v203
	v_mov_b32_e32 v245, v184
	v_add_f32_e32 v119, v134, v119
	v_add_f32_e32 v233, v201, v233
	v_fmac_f32_e32 v181, 0xbf3f9e67, v145
	v_mov_b32_e32 v244, v183
	v_mov_b32_e32 v183, v173
	v_add_f32_e32 v119, v136, v119
	v_add_f32_e32 v181, v181, v233
	v_fmac_f32_e32 v183, 0x3f62ad3f, v146
	v_mul_f32_e32 v243, 0xbf7e222b, v221
	v_add_f32_e32 v119, v138, v119
	v_add_f32_e32 v181, v183, v181
	v_mov_b32_e32 v233, v243
	v_mul_f32_e32 v241, 0x3e750f2a, v224
	v_mov_b32_e32 v182, v187
	v_add_f32_e32 v119, v140, v119
	v_fmac_f32_e32 v233, 0x3df6dbef, v149
	v_mov_b32_e32 v183, v188
	v_mov_b32_e32 v187, v241
	v_add_f32_e32 v119, v120, v119
	v_add_f32_e32 v181, v233, v181
	v_fmac_f32_e32 v187, 0xbf788fa5, v151
	v_add_f32_e32 v116, v116, v119
	v_fmac_f32_e32 v248, 0xbe750f2a, v147
	v_add_f32_e32 v181, v187, v181
	v_mul_f32_e32 v187, 0x3f52af12, v226
	v_add_f32_e32 v116, v118, v116
	v_add_f32_e32 v118, v202, v248
	v_fmac_f32_e32 v249, 0x3eedf032, v148
	v_mov_b32_e32 v233, v187
	v_add_f32_e32 v118, v249, v118
	v_fmac_f32_e32 v250, 0xbf29c268, v150
	v_fmac_f32_e32 v233, 0x3f116cb1, v153
	v_add_f32_e32 v118, v250, v118
	v_fmac_f32_e32 v251, 0x3f52af12, v152
	v_add_f32_e32 v164, v233, v181
	v_add_f32_e32 v118, v251, v118
	v_fmac_f32_e32 v252, 0xbf6f5d39, v154
	buffer_store_dword v164, off, s[24:27], 0 offset:92 ; 4-byte Folded Spill
	s_nop 0
	buffer_store_dword v165, off, s[24:27], 0 offset:96 ; 4-byte Folded Spill
	v_add_f32_e32 v118, v252, v118
	v_fmac_f32_e32 v253, 0x3f7e222b, v155
	v_add_f32_e32 v119, v253, v118
	buffer_load_dword v118, off, s[24:27], 0 offset:100 ; 4-byte Folded Reload
	buffer_load_dword v120, off, s[24:27], 0 offset:104 ; 4-byte Folded Reload
	v_fmac_f32_e32 v216, 0xbf29c268, v147
	v_fmac_f32_e32 v217, 0x3f7e222b, v148
	;; [unrolled: 1-line block ×6, first 2 shown]
	v_fma_f32 v122, v145, s12, -v240
	v_mov_b32_e32 v234, v23
	v_mul_f32_e32 v181, 0x3df6dbef, v222
	v_mov_b32_e32 v233, v22
	v_mov_b32_e32 v232, v21
	;; [unrolled: 1-line block ×6, first 2 shown]
	v_mul_f32_e32 v189, 0xbf788fa5, v225
	v_mov_b32_e32 v164, v191
	v_fmac_f32_e32 v235, 0x3f7e222b, v147
	v_mov_b32_e32 v190, v189
	v_mov_b32_e32 v165, v192
	v_mul_f32_e32 v191, 0xbeb58ec6, v227
	v_add_f32_e32 v235, v202, v235
	v_fmac_f32_e32 v190, 0x3e750f2a, v148
	v_mov_b32_e32 v192, v191
	v_add_f32_e32 v190, v190, v235
	v_fmac_f32_e32 v192, 0xbf6f5d39, v150
	v_add_f32_e32 v190, v192, v190
	v_mul_f32_e32 v192, 0x3f62ad3f, v228
	v_mov_b32_e32 v255, v194
	v_mov_b32_e32 v235, v192
	v_mov_b32_e32 v254, v193
	v_mul_f32_e32 v193, 0x3f116cb1, v229
	v_fmac_f32_e32 v235, 0xbeedf032, v152
	v_mov_b32_e32 v194, v193
	v_add_f32_e32 v190, v235, v190
	v_fmac_f32_e32 v194, 0x3f52af12, v154
	v_add_f32_e32 v190, v194, v190
	v_mul_f32_e32 v194, 0xbf3f9e67, v230
	v_mov_b32_e32 v235, v194
	v_fmac_f32_e32 v235, 0x3f29c268, v155
	v_add_f32_e32 v236, v235, v190
	v_mul_f32_e32 v190, 0xbf7e222b, v163
	v_mov_b32_e32 v20, v195
	v_mov_b32_e32 v235, v190
	;; [unrolled: 1-line block ×3, first 2 shown]
	v_mul_f32_e32 v195, 0xbe750f2a, v166
	v_fmac_f32_e32 v235, 0x3df6dbef, v144
	v_mov_b32_e32 v196, v195
	buffer_store_dword v197, off, s[24:27], 0 offset:20 ; 4-byte Folded Spill
	v_mul_f32_e32 v197, 0x3f6f5d39, v203
	v_add_f32_e32 v235, v201, v235
	v_fmac_f32_e32 v196, 0xbf788fa5, v145
	buffer_store_dword v198, off, s[24:27], 0 offset:24 ; 4-byte Folded Spill
	v_mov_b32_e32 v198, v197
	v_fmac_f32_e32 v171, 0xbf6f5d39, v147
	v_add_f32_e32 v196, v196, v235
	v_fmac_f32_e32 v198, 0xbeb58ec6, v146
	v_fmac_f32_e32 v174, 0x3f29c268, v148
	v_add_f32_e32 v196, v198, v196
	v_mul_f32_e32 v198, 0x3eedf032, v221
	v_fmac_f32_e32 v176, 0x3eedf032, v150
	v_mov_b32_e32 v235, v198
	v_fmac_f32_e32 v177, 0xbf7e222b, v152
	v_fmac_f32_e32 v235, 0x3f62ad3f, v149
	buffer_store_dword v206, off, s[24:27], 0 offset:28 ; 4-byte Folded Spill
	v_mul_f32_e32 v206, 0xbf52af12, v224
	v_fmac_f32_e32 v178, 0x3e750f2a, v154
	v_add_f32_e32 v196, v235, v196
	v_mov_b32_e32 v235, v206
	v_fmac_f32_e32 v179, 0x3f52af12, v155
	v_fmac_f32_e32 v235, 0x3f116cb1, v151
	v_mul_f32_e32 v220, 0xbf29c268, v226
	v_add_f32_e32 v196, v235, v196
	v_mov_b32_e32 v235, v220
	v_fma_f32 v124, v145, s16, -v180
	v_fmac_f32_e32 v235, 0xbf3f9e67, v153
	v_add_f32_e32 v235, v235, v196
	v_mul_f32_e32 v196, 0x3f116cb1, v222
	s_waitcnt vmcnt(4)
	v_fma_f32 v118, v144, s17, -v118
	v_add_f32_e32 v118, v201, v118
	s_waitcnt vmcnt(3)
	v_fma_f32 v120, v145, s6, -v120
	v_add_f32_e32 v118, v120, v118
	buffer_load_dword v120, off, s[24:27], 0 offset:108 ; 4-byte Folded Reload
	v_mov_b32_e32 v222, v196
	v_mul_f32_e32 v188, 0xbeb58ec6, v225
	v_fmac_f32_e32 v222, 0x3f52af12, v147
	v_mov_b32_e32 v225, v188
	v_fmac_f32_e32 v181, 0xbf7e222b, v147
	v_add_f32_e32 v222, v202, v222
	v_fmac_f32_e32 v225, 0x3f6f5d39, v148
	v_fmac_f32_e32 v189, 0xbe750f2a, v148
	v_add_f32_e32 v222, v225, v222
	v_mul_f32_e32 v225, 0xbf788fa5, v227
	v_fmac_f32_e32 v191, 0x3f6f5d39, v150
	v_mov_b32_e32 v227, v225
	v_fmac_f32_e32 v192, 0x3eedf032, v152
	v_fmac_f32_e32 v227, 0x3e750f2a, v150
	;; [unrolled: 1-line block ×3, first 2 shown]
	v_add_f32_e32 v222, v227, v222
	v_mul_f32_e32 v227, 0xbf3f9e67, v228
	v_fmac_f32_e32 v194, 0xbf29c268, v155
	v_mov_b32_e32 v228, v227
	v_fmac_f32_e32 v228, 0xbf29c268, v152
	v_fma_f32 v126, v145, s17, -v195
	v_add_f32_e32 v222, v228, v222
	v_mul_f32_e32 v228, 0x3df6dbef, v229
	v_mov_b32_e32 v229, v228
	v_fmac_f32_e32 v229, 0xbf7e222b, v154
	v_add_f32_e32 v222, v229, v222
	v_mul_f32_e32 v229, 0x3f62ad3f, v230
	v_fmac_f32_e32 v196, 0xbf52af12, v147
	v_mov_b32_e32 v230, v229
	v_fmac_f32_e32 v188, 0xbf6f5d39, v148
	v_fmac_f32_e32 v230, 0xbeedf032, v155
	v_mul_f32_e32 v163, 0xbf52af12, v163
	v_fmac_f32_e32 v225, 0xbe750f2a, v150
	v_add_f32_e32 v222, v230, v222
	v_mov_b32_e32 v230, v163
	v_mul_f32_e32 v184, 0xbf6f5d39, v166
	v_fmac_f32_e32 v227, 0x3f29c268, v152
	v_fmac_f32_e32 v230, 0x3f116cb1, v144
	v_mov_b32_e32 v166, v184
	v_fmac_f32_e32 v228, 0x3f7e222b, v154
	v_add_f32_e32 v230, v201, v230
	v_fmac_f32_e32 v166, 0xbeb58ec6, v145
	v_mul_f32_e32 v203, 0xbe750f2a, v203
	v_fmac_f32_e32 v229, 0x3eedf032, v155
	v_add_f32_e32 v166, v166, v230
	v_mov_b32_e32 v230, v203
	v_fmac_f32_e32 v230, 0xbf788fa5, v146
	v_fma_f32 v128, v145, s13, -v184
	v_add_f32_e32 v166, v230, v166
	v_mul_f32_e32 v230, 0x3f29c268, v221
	v_mul_f32_e32 v224, 0x3f7e222b, v224
	;; [unrolled: 1-line block ×3, first 2 shown]
	v_mov_b32_e32 v221, v230
	v_fmac_f32_e32 v221, 0xbf3f9e67, v149
	v_add_f32_e32 v166, v221, v166
	v_mov_b32_e32 v221, v224
	v_fmac_f32_e32 v221, 0x3df6dbef, v151
	v_add_f32_e32 v166, v221, v166
	;; [unrolled: 3-line block ×3, first 2 shown]
	v_mul_f32_e32 v166, 0xbeedf032, v147
	v_sub_f32_e32 v158, v158, v166
	v_mul_f32_e32 v166, 0xbf52af12, v148
	v_add_f32_e32 v158, v202, v158
	v_sub_f32_e32 v160, v160, v166
	v_add_f32_e32 v158, v160, v158
	v_mul_f32_e32 v160, 0xbf7e222b, v150
	v_sub_f32_e32 v160, v162, v160
	v_add_f32_e32 v158, v160, v158
	v_mul_f32_e32 v160, 0xbf6f5d39, v152
	;; [unrolled: 3-line block ×4, first 2 shown]
	v_sub_f32_e32 v160, v223, v160
	v_add_f32_e32 v158, v160, v158
	s_waitcnt vmcnt(0)
	v_fma_f32 v120, v146, s16, -v120
	v_add_f32_e32 v118, v120, v118
	buffer_load_dword v120, off, s[24:27], 0 offset:112 ; 4-byte Folded Reload
	v_mul_f32_e32 v160, 0x3f62ad3f, v144
	v_add_f32_e32 v156, v160, v156
	v_mul_f32_e32 v160, 0x3f116cb1, v145
	v_add_f32_e32 v156, v201, v156
	v_add_f32_e32 v157, v160, v157
	;; [unrolled: 1-line block ×3, first 2 shown]
	v_mul_f32_e32 v157, 0x3df6dbef, v146
	v_add_f32_e32 v157, v157, v159
	v_add_f32_e32 v156, v157, v156
	v_mul_f32_e32 v157, 0xbeb58ec6, v149
	v_add_f32_e32 v157, v157, v213
	v_add_f32_e32 v156, v157, v156
	;; [unrolled: 3-line block ×4, first 2 shown]
	s_waitcnt vmcnt(0)
	v_fma_f32 v120, v149, s7, -v120
	v_add_f32_e32 v118, v120, v118
	buffer_load_dword v120, off, s[24:27], 0 offset:116 ; 4-byte Folded Reload
	s_waitcnt vmcnt(0)
	v_fma_f32 v120, v151, s13, -v120
	v_add_f32_e32 v118, v120, v118
	v_fma_f32 v120, v153, s12, -v247
	v_add_f32_e32 v118, v120, v118
	v_add_f32_e32 v120, v202, v216
	;; [unrolled: 1-line block ×7, first 2 shown]
	v_fma_f32 v120, v144, s16, -v242
	v_add_f32_e32 v120, v201, v120
	v_add_f32_e32 v120, v122, v120
	v_fma_f32 v122, v146, s7, -v143
	v_add_f32_e32 v120, v122, v120
	v_fma_f32 v122, v149, s17, -v239
	buffer_load_dword v218, off, s[24:27], 0 offset:60 ; 4-byte Folded Reload
	buffer_load_dword v219, off, s[24:27], 0 offset:64 ; 4-byte Folded Reload
	v_add_f32_e32 v120, v122, v120
	buffer_load_dword v122, off, s[24:27], 0 offset:120 ; 4-byte Folded Reload
	buffer_load_dword v210, off, s[24:27], 0 offset:48 ; 4-byte Folded Reload
	v_mov_b32_e32 v216, v237
	v_mov_b32_e32 v217, v238
	s_waitcnt vmcnt(1)
	v_fma_f32 v122, v151, s6, -v122
	v_add_f32_e32 v120, v122, v120
	v_fma_f32 v122, v153, s13, -v246
	v_add_f32_e32 v120, v122, v120
	v_add_f32_e32 v122, v202, v171
	;; [unrolled: 1-line block ×3, first 2 shown]
	buffer_load_dword v174, off, s[24:27], 0 offset:16 ; 4-byte Folded Reload
	v_add_f32_e32 v122, v176, v122
	v_add_f32_e32 v122, v177, v122
	;; [unrolled: 1-line block ×4, first 2 shown]
	v_fma_f32 v122, v144, s13, -v175
	v_add_f32_e32 v122, v201, v122
	v_add_f32_e32 v122, v124, v122
	v_fma_f32 v124, v146, s6, -v173
	v_add_f32_e32 v122, v124, v122
	v_fma_f32 v124, v149, s12, -v243
	;; [unrolled: 2-line block ×4, first 2 shown]
	v_add_f32_e32 v122, v124, v122
	v_add_f32_e32 v124, v202, v181
	;; [unrolled: 1-line block ×7, first 2 shown]
	v_fma_f32 v124, v144, s12, -v190
	v_add_f32_e32 v124, v201, v124
	v_add_f32_e32 v124, v126, v124
	v_fma_f32 v126, v146, s13, -v197
	v_add_f32_e32 v124, v126, v124
	v_fma_f32 v126, v149, s6, -v198
	;; [unrolled: 2-line block ×4, first 2 shown]
	v_add_f32_e32 v124, v126, v124
	v_add_f32_e32 v126, v202, v196
	;; [unrolled: 1-line block ×7, first 2 shown]
	v_fma_f32 v126, v144, s7, -v163
	v_add_f32_e32 v126, v201, v126
	v_add_f32_e32 v126, v128, v126
	v_fma_f32 v128, v146, s17, -v203
	v_add_f32_e32 v126, v128, v126
	v_fma_f32 v128, v149, s16, -v230
	v_mov_b32_e32 v175, v207
	v_add_f32_e32 v126, v128, v126
	v_fma_f32 v128, v151, s12, -v224
	v_mov_b32_e32 v177, v214
	v_mov_b32_e32 v176, v208
	;; [unrolled: 1-line block ×4, first 2 shown]
	v_add_f32_e32 v126, v128, v126
	v_fma_f32 v128, v153, s6, -v226
	v_mov_b32_e32 v178, v215
	buffer_load_dword v215, off, s[24:27], 0 offset:56 ; 4-byte Folded Reload
	buffer_load_dword v214, off, s[24:27], 0 offset:52 ; 4-byte Folded Reload
	v_mov_b32_e32 v208, v168
	buffer_load_dword v169, off, s[24:27], 0 offset:40 ; 4-byte Folded Reload
	buffer_load_dword v168, off, s[24:27], 0 offset:36 ; 4-byte Folded Reload
	;; [unrolled: 1-line block ×3, first 2 shown]
	v_mov_b32_e32 v180, v186
	buffer_load_dword v186, off, s[24:27], 0 offset:44 ; 4-byte Folded Reload
	buffer_load_dword v206, off, s[24:27], 0 offset:28 ; 4-byte Folded Reload
	;; [unrolled: 1-line block ×4, first 2 shown]
	v_add_f32_e32 v126, v128, v126
	buffer_load_dword v128, off, s[24:27], 0 offset:84 ; 4-byte Folded Reload
	buffer_load_dword v129, off, s[24:27], 0 offset:88 ; 4-byte Folded Reload
	v_mov_b32_e32 v190, v23
	v_mov_b32_e32 v196, v21
	;; [unrolled: 1-line block ×18, first 2 shown]
	s_waitcnt vmcnt(0)
	v_lshl_add_u32 v128, v129, 3, v128
	ds_write2_b64 v128, v[116:117], v[157:158] offset1:1
	ds_write2_b64 v128, v[221:222], v[235:236] offset0:2 offset1:3
	buffer_load_dword v116, off, s[24:27], 0 offset:76 ; 4-byte Folded Reload
	buffer_load_dword v117, off, s[24:27], 0 offset:80 ; 4-byte Folded Reload
	;; [unrolled: 1-line block ×4, first 2 shown]
	s_waitcnt vmcnt(0)
	ds_write2_b64 v128, v[129:130], v[116:117] offset0:4 offset1:5
	buffer_load_dword v116, off, s[24:27], 0 offset:68 ; 4-byte Folded Reload
	buffer_load_dword v117, off, s[24:27], 0 offset:72 ; 4-byte Folded Reload
	s_waitcnt vmcnt(0)
	ds_write2_b64 v128, v[116:117], v[118:119] offset0:6 offset1:7
	ds_write2_b64 v128, v[120:121], v[122:123] offset0:8 offset1:9
	;; [unrolled: 1-line block ×3, first 2 shown]
	ds_write_b64 v128, v[132:133] offset:96
.LBB0_17:
	s_or_b64 exec, exec, s[4:5]
	s_waitcnt lgkmcnt(0)
	s_barrier
	ds_read2_b64 v[124:127], v205 offset1:39
	ds_read2_b64 v[116:119], v205 offset0:156 offset1:195
	v_add_u32_e32 v131, 0x800, v205
	v_add_u32_e32 v128, 0x1000, v205
	ds_read2_b64 v[134:137], v131 offset0:134 offset1:173
	ds_read2_b64 v[138:141], v128 offset0:34 offset1:73
	v_add_u32_e32 v130, 0x1800, v205
	ds_read2_b64 v[142:145], v130 offset0:12 offset1:51
	s_waitcnt lgkmcnt(3)
	v_mul_f32_e32 v170, v5, v119
	v_mul_f32_e32 v5, v5, v118
	v_fmac_f32_e32 v170, v4, v118
	v_fma_f32 v118, v4, v119, -v5
	s_waitcnt lgkmcnt(2)
	v_mul_f32_e32 v119, v7, v135
	v_mul_f32_e32 v4, v7, v134
	s_waitcnt lgkmcnt(1)
	v_mul_f32_e32 v7, v1, v141
	v_mul_f32_e32 v1, v1, v140
	v_add_u32_e32 v129, 0x400, v205
	v_fmac_f32_e32 v119, v6, v134
	v_fma_f32 v134, v6, v135, -v4
	v_fmac_f32_e32 v7, v0, v140
	v_fma_f32 v135, v0, v141, -v1
	s_waitcnt lgkmcnt(0)
	v_mul_f32_e32 v0, v3, v142
	ds_read2_b64 v[146:149], v129 offset0:106 offset1:145
	ds_read2_b64 v[150:153], v128 offset0:112 offset1:151
	;; [unrolled: 1-line block ×7, first 2 shown]
	ds_read_b64 v[166:167], v205 offset:7488
	v_mul_f32_e32 v5, v3, v143
	v_fma_f32 v140, v2, v143, -v0
	s_waitcnt lgkmcnt(7)
	v_mul_f32_e32 v0, v13, v146
	v_fmac_f32_e32 v5, v2, v142
	v_fma_f32 v142, v12, v147, -v0
	v_mul_f32_e32 v143, v15, v137
	v_mul_f32_e32 v0, v15, v136
	;; [unrolled: 1-line block ×3, first 2 shown]
	v_fmac_f32_e32 v143, v14, v136
	v_fma_f32 v136, v14, v137, -v0
	s_waitcnt lgkmcnt(6)
	v_mul_f32_e32 v0, v9, v150
	v_fmac_f32_e32 v141, v12, v146
	v_fma_f32 v146, v8, v151, -v0
	v_mul_f32_e32 v15, v11, v145
	v_mul_f32_e32 v0, v11, v144
	v_fmac_f32_e32 v15, v10, v144
	v_fma_f32 v144, v10, v145, -v0
	v_mul_f32_e32 v0, v25, v148
	v_fma_f32 v147, v24, v149, -v0
	s_waitcnt lgkmcnt(4)
	v_mul_f32_e32 v0, v27, v154
	v_mul_f32_e32 v137, v9, v151
	;; [unrolled: 1-line block ×3, first 2 shown]
	v_fma_f32 v149, v26, v155, -v0
	v_mul_f32_e32 v0, v17, v152
	v_fmac_f32_e32 v137, v8, v150
	v_mul_f32_e32 v150, v17, v153
	v_fma_f32 v151, v16, v153, -v0
	s_waitcnt lgkmcnt(3)
	v_mul_f32_e32 v0, v19, v158
	v_fmac_f32_e32 v145, v24, v148
	v_mul_f32_e32 v148, v27, v155
	v_fmac_f32_e32 v150, v16, v152
	v_fma_f32 v152, v18, v159, -v0
	s_waitcnt lgkmcnt(2)
	v_mul_f32_e32 v0, v29, v162
	v_fmac_f32_e32 v148, v26, v154
	v_fma_f32 v154, v28, v163, -v0
	v_mul_f32_e32 v155, v31, v157
	v_mul_f32_e32 v0, v31, v156
	v_add_f32_e32 v1, v119, v7
	v_fmac_f32_e32 v155, v30, v156
	v_fma_f32 v156, v30, v157, -v0
	s_waitcnt lgkmcnt(1)
	v_mul_f32_e32 v157, v41, v202
	v_mul_f32_e32 v0, v41, v201
	v_fma_f32 v2, -0.5, v1, v124
	v_fmac_f32_e32 v157, v40, v201
	v_fma_f32 v40, v40, v202, -v0
	v_mul_f32_e32 v41, v43, v161
	v_mul_f32_e32 v0, v43, v160
	v_sub_f32_e32 v1, v118, v140
	v_mov_b32_e32 v4, v2
	v_mul_f32_e32 v27, v19, v159
	v_fmac_f32_e32 v41, v42, v160
	v_fma_f32 v42, v42, v161, -v0
	v_mul_f32_e32 v0, v37, v164
	v_fmac_f32_e32 v4, 0xbf737871, v1
	v_sub_f32_e32 v3, v134, v135
	v_sub_f32_e32 v6, v170, v119
	;; [unrolled: 1-line block ×3, first 2 shown]
	v_fmac_f32_e32 v2, 0x3f737871, v1
	v_fmac_f32_e32 v27, v18, v158
	v_fma_f32 v158, v36, v165, -v0
	v_mul_f32_e32 v159, v39, v139
	v_mul_f32_e32 v0, v39, v138
	v_fmac_f32_e32 v4, 0xbf167918, v3
	v_add_f32_e32 v6, v6, v8
	v_fmac_f32_e32 v2, 0x3f167918, v3
	v_fmac_f32_e32 v159, v38, v138
	v_fma_f32 v138, v38, v139, -v0
	v_mul_f32_e32 v0, v33, v203
	v_fmac_f32_e32 v4, 0x3e9e377a, v6
	v_fmac_f32_e32 v2, 0x3e9e377a, v6
	v_add_f32_e32 v6, v170, v5
	v_mul_f32_e32 v153, v29, v163
	v_fma_f32 v160, v32, v204, -v0
	s_waitcnt lgkmcnt(0)
	v_mul_f32_e32 v0, v35, v166
	v_fma_f32 v6, -0.5, v6, v124
	v_fmac_f32_e32 v153, v28, v162
	v_fma_f32 v162, v34, v167, -v0
	v_add_f32_e32 v0, v124, v170
	v_mov_b32_e32 v8, v6
	v_add_f32_e32 v0, v0, v119
	v_fmac_f32_e32 v8, 0x3f737871, v3
	v_fmac_f32_e32 v6, 0xbf737871, v3
	v_add_f32_e32 v3, v134, v135
	v_add_f32_e32 v0, v0, v7
	v_sub_f32_e32 v9, v119, v170
	v_sub_f32_e32 v10, v7, v5
	v_fma_f32 v3, -0.5, v3, v125
	v_add_f32_e32 v0, v0, v5
	v_fmac_f32_e32 v8, 0xbf167918, v1
	v_add_f32_e32 v9, v9, v10
	v_fmac_f32_e32 v6, 0x3f167918, v1
	v_sub_f32_e32 v10, v170, v5
	v_mov_b32_e32 v5, v3
	v_fmac_f32_e32 v8, 0x3e9e377a, v9
	v_fmac_f32_e32 v6, 0x3e9e377a, v9
	;; [unrolled: 1-line block ×3, first 2 shown]
	v_sub_f32_e32 v11, v119, v7
	v_sub_f32_e32 v7, v118, v134
	;; [unrolled: 1-line block ×3, first 2 shown]
	v_fmac_f32_e32 v3, 0xbf737871, v10
	v_fmac_f32_e32 v5, 0x3f167918, v11
	v_add_f32_e32 v7, v7, v9
	v_fmac_f32_e32 v3, 0xbf167918, v11
	v_fmac_f32_e32 v5, 0x3e9e377a, v7
	;; [unrolled: 1-line block ×3, first 2 shown]
	v_add_f32_e32 v7, v118, v140
	v_fma_f32 v7, -0.5, v7, v125
	v_mov_b32_e32 v9, v7
	v_fmac_f32_e32 v9, 0xbf737871, v11
	v_sub_f32_e32 v12, v134, v118
	v_sub_f32_e32 v13, v135, v140
	v_fmac_f32_e32 v7, 0x3f737871, v11
	v_fmac_f32_e32 v9, 0x3f167918, v10
	v_add_f32_e32 v12, v12, v13
	v_fmac_f32_e32 v7, 0xbf167918, v10
	v_add_f32_e32 v11, v143, v137
	v_fmac_f32_e32 v9, 0x3e9e377a, v12
	v_fmac_f32_e32 v7, 0x3e9e377a, v12
	v_fma_f32 v12, -0.5, v11, v126
	v_sub_f32_e32 v11, v142, v144
	v_mov_b32_e32 v14, v12
	v_fmac_f32_e32 v14, 0xbf737871, v11
	v_sub_f32_e32 v13, v136, v146
	v_sub_f32_e32 v16, v141, v143
	;; [unrolled: 1-line block ×3, first 2 shown]
	v_fmac_f32_e32 v12, 0x3f737871, v11
	v_fmac_f32_e32 v14, 0xbf167918, v13
	v_add_f32_e32 v16, v16, v17
	v_fmac_f32_e32 v12, 0x3f167918, v13
	v_fmac_f32_e32 v14, 0x3e9e377a, v16
	;; [unrolled: 1-line block ×3, first 2 shown]
	v_add_f32_e32 v16, v141, v15
	v_add_f32_e32 v10, v126, v141
	v_fma_f32 v126, -0.5, v16, v126
	v_mov_b32_e32 v16, v126
	v_add_f32_e32 v10, v10, v143
	v_fmac_f32_e32 v16, 0x3f737871, v13
	v_fmac_f32_e32 v126, 0xbf737871, v13
	v_add_f32_e32 v13, v136, v146
	v_add_f32_e32 v10, v10, v137
	v_sub_f32_e32 v17, v143, v141
	v_sub_f32_e32 v18, v137, v15
	v_fma_f32 v13, -0.5, v13, v127
	v_add_f32_e32 v10, v10, v15
	v_fmac_f32_e32 v16, 0xbf167918, v11
	v_add_f32_e32 v17, v17, v18
	v_fmac_f32_e32 v126, 0x3f167918, v11
	v_sub_f32_e32 v18, v141, v15
	v_mov_b32_e32 v15, v13
	v_fmac_f32_e32 v16, 0x3e9e377a, v17
	v_fmac_f32_e32 v126, 0x3e9e377a, v17
	;; [unrolled: 1-line block ×3, first 2 shown]
	v_sub_f32_e32 v19, v143, v137
	v_sub_f32_e32 v17, v142, v136
	;; [unrolled: 1-line block ×3, first 2 shown]
	v_fmac_f32_e32 v13, 0xbf737871, v18
	v_fmac_f32_e32 v15, 0x3f167918, v19
	v_add_f32_e32 v17, v17, v24
	v_fmac_f32_e32 v13, 0xbf167918, v19
	v_fmac_f32_e32 v15, 0x3e9e377a, v17
	;; [unrolled: 1-line block ×3, first 2 shown]
	v_add_f32_e32 v17, v142, v144
	v_add_f32_e32 v11, v127, v142
	v_fmac_f32_e32 v127, -0.5, v17
	v_mov_b32_e32 v17, v127
	v_fmac_f32_e32 v17, 0xbf737871, v19
	v_sub_f32_e32 v24, v136, v142
	v_sub_f32_e32 v25, v146, v144
	v_fmac_f32_e32 v127, 0x3f737871, v19
	v_fmac_f32_e32 v17, 0x3f167918, v18
	v_add_f32_e32 v24, v24, v25
	v_fmac_f32_e32 v127, 0xbf167918, v18
	v_add_f32_e32 v19, v148, v150
	v_fmac_f32_e32 v17, 0x3e9e377a, v24
	v_fmac_f32_e32 v127, 0x3e9e377a, v24
	v_fma_f32 v24, -0.5, v19, v120
	v_sub_f32_e32 v19, v147, v152
	v_mov_b32_e32 v26, v24
	v_fmac_f32_e32 v26, 0xbf737871, v19
	v_sub_f32_e32 v25, v149, v151
	v_sub_f32_e32 v28, v145, v148
	;; [unrolled: 1-line block ×3, first 2 shown]
	v_fmac_f32_e32 v24, 0x3f737871, v19
	v_fmac_f32_e32 v26, 0xbf167918, v25
	v_add_f32_e32 v28, v28, v29
	v_fmac_f32_e32 v24, 0x3f167918, v25
	v_fmac_f32_e32 v26, 0x3e9e377a, v28
	;; [unrolled: 1-line block ×3, first 2 shown]
	v_add_f32_e32 v28, v145, v27
	v_fma_f32 v28, -0.5, v28, v120
	v_add_f32_e32 v18, v120, v145
	v_mov_b32_e32 v30, v28
	v_add_f32_e32 v18, v18, v148
	v_fmac_f32_e32 v30, 0x3f737871, v25
	v_fmac_f32_e32 v28, 0xbf737871, v25
	v_add_f32_e32 v25, v149, v151
	v_mul_f32_e32 v139, v33, v204
	v_add_f32_e32 v18, v18, v150
	v_sub_f32_e32 v29, v148, v145
	v_sub_f32_e32 v31, v150, v27
	v_fma_f32 v25, -0.5, v25, v121
	v_fmac_f32_e32 v139, v32, v203
	v_add_f32_e32 v18, v18, v27
	v_fmac_f32_e32 v30, 0xbf167918, v19
	v_add_f32_e32 v29, v29, v31
	v_fmac_f32_e32 v28, 0x3f167918, v19
	v_sub_f32_e32 v32, v145, v27
	v_mov_b32_e32 v27, v25
	v_fmac_f32_e32 v30, 0x3e9e377a, v29
	v_fmac_f32_e32 v28, 0x3e9e377a, v29
	;; [unrolled: 1-line block ×3, first 2 shown]
	v_sub_f32_e32 v33, v148, v150
	v_sub_f32_e32 v29, v147, v149
	;; [unrolled: 1-line block ×3, first 2 shown]
	v_fmac_f32_e32 v25, 0xbf737871, v32
	v_fmac_f32_e32 v27, 0x3f167918, v33
	v_add_f32_e32 v29, v29, v31
	v_fmac_f32_e32 v25, 0xbf167918, v33
	v_fmac_f32_e32 v27, 0x3e9e377a, v29
	;; [unrolled: 1-line block ×3, first 2 shown]
	v_add_f32_e32 v29, v147, v152
	v_fma_f32 v29, -0.5, v29, v121
	v_mul_f32_e32 v161, v35, v167
	v_mov_b32_e32 v31, v29
	v_fmac_f32_e32 v161, v34, v166
	v_fmac_f32_e32 v31, 0xbf737871, v33
	v_sub_f32_e32 v34, v149, v147
	v_sub_f32_e32 v35, v151, v152
	v_fmac_f32_e32 v29, 0x3f737871, v33
	v_fmac_f32_e32 v31, 0x3f167918, v32
	v_add_f32_e32 v34, v34, v35
	v_fmac_f32_e32 v29, 0xbf167918, v32
	v_add_f32_e32 v33, v155, v157
	v_mul_f32_e32 v43, v37, v165
	v_fmac_f32_e32 v31, 0x3e9e377a, v34
	v_fmac_f32_e32 v29, 0x3e9e377a, v34
	v_fma_f32 v34, -0.5, v33, v122
	v_fmac_f32_e32 v43, v36, v164
	v_sub_f32_e32 v33, v154, v42
	v_mov_b32_e32 v36, v34
	v_fmac_f32_e32 v36, 0xbf737871, v33
	v_sub_f32_e32 v35, v156, v40
	v_sub_f32_e32 v37, v153, v155
	;; [unrolled: 1-line block ×3, first 2 shown]
	v_fmac_f32_e32 v34, 0x3f737871, v33
	v_fmac_f32_e32 v36, 0xbf167918, v35
	v_add_f32_e32 v37, v37, v38
	v_fmac_f32_e32 v34, 0x3f167918, v35
	v_fmac_f32_e32 v36, 0x3e9e377a, v37
	;; [unrolled: 1-line block ×3, first 2 shown]
	v_add_f32_e32 v37, v153, v41
	v_add_f32_e32 v32, v122, v153
	v_fma_f32 v122, -0.5, v37, v122
	v_mov_b32_e32 v38, v122
	v_add_f32_e32 v32, v32, v155
	v_fmac_f32_e32 v38, 0x3f737871, v35
	v_sub_f32_e32 v37, v155, v153
	v_sub_f32_e32 v39, v157, v41
	v_fmac_f32_e32 v122, 0xbf737871, v35
	v_add_f32_e32 v35, v156, v40
	v_add_f32_e32 v32, v32, v157
	v_fmac_f32_e32 v38, 0xbf167918, v33
	v_add_f32_e32 v37, v37, v39
	v_fmac_f32_e32 v122, 0x3f167918, v33
	v_fma_f32 v35, -0.5, v35, v123
	v_add_f32_e32 v32, v32, v41
	v_fmac_f32_e32 v38, 0x3e9e377a, v37
	v_fmac_f32_e32 v122, 0x3e9e377a, v37
	v_sub_f32_e32 v41, v153, v41
	v_mov_b32_e32 v37, v35
	v_add_f32_e32 v1, v125, v118
	v_fmac_f32_e32 v37, 0x3f737871, v41
	v_sub_f32_e32 v118, v155, v157
	v_sub_f32_e32 v39, v154, v156
	;; [unrolled: 1-line block ×3, first 2 shown]
	v_fmac_f32_e32 v35, 0xbf737871, v41
	v_fmac_f32_e32 v37, 0x3f167918, v118
	v_add_f32_e32 v39, v39, v119
	v_fmac_f32_e32 v35, 0xbf167918, v118
	v_fmac_f32_e32 v37, 0x3e9e377a, v39
	;; [unrolled: 1-line block ×3, first 2 shown]
	v_add_f32_e32 v39, v154, v42
	v_add_f32_e32 v33, v123, v154
	v_fmac_f32_e32 v123, -0.5, v39
	v_mov_b32_e32 v39, v123
	v_fmac_f32_e32 v39, 0xbf737871, v118
	v_fmac_f32_e32 v123, 0x3f737871, v118
	v_add_f32_e32 v33, v33, v156
	v_fmac_f32_e32 v39, 0x3f167918, v41
	v_fmac_f32_e32 v123, 0xbf167918, v41
	v_add_f32_e32 v41, v159, v139
	v_add_f32_e32 v33, v33, v40
	v_fma_f32 v124, -0.5, v41, v116
	v_add_f32_e32 v33, v33, v42
	v_sub_f32_e32 v119, v156, v154
	v_sub_f32_e32 v40, v40, v42
	;; [unrolled: 1-line block ×3, first 2 shown]
	v_mov_b32_e32 v42, v124
	v_add_f32_e32 v40, v119, v40
	v_fmac_f32_e32 v42, 0xbf737871, v41
	v_sub_f32_e32 v119, v138, v160
	v_sub_f32_e32 v118, v43, v159
	;; [unrolled: 1-line block ×3, first 2 shown]
	v_fmac_f32_e32 v124, 0x3f737871, v41
	v_fmac_f32_e32 v42, 0xbf167918, v119
	v_add_f32_e32 v118, v118, v120
	v_fmac_f32_e32 v124, 0x3f167918, v119
	v_fmac_f32_e32 v42, 0x3e9e377a, v118
	;; [unrolled: 1-line block ×3, first 2 shown]
	v_add_f32_e32 v118, v43, v161
	v_fmac_f32_e32 v39, 0x3e9e377a, v40
	v_fmac_f32_e32 v123, 0x3e9e377a, v40
	v_add_f32_e32 v40, v116, v43
	v_fma_f32 v116, -0.5, v118, v116
	v_mov_b32_e32 v118, v116
	v_add_f32_e32 v19, v121, v147
	v_fmac_f32_e32 v118, 0x3f737871, v119
	v_sub_f32_e32 v120, v159, v43
	v_sub_f32_e32 v121, v139, v161
	v_fmac_f32_e32 v116, 0xbf737871, v119
	v_add_f32_e32 v119, v138, v160
	v_fmac_f32_e32 v118, 0xbf167918, v41
	v_add_f32_e32 v120, v120, v121
	v_fmac_f32_e32 v116, 0x3f167918, v41
	v_fma_f32 v125, -0.5, v119, v117
	v_fmac_f32_e32 v118, 0x3e9e377a, v120
	v_fmac_f32_e32 v116, 0x3e9e377a, v120
	v_sub_f32_e32 v120, v43, v161
	v_mov_b32_e32 v43, v125
	v_add_f32_e32 v1, v1, v134
	v_fmac_f32_e32 v43, 0x3f737871, v120
	v_sub_f32_e32 v121, v159, v139
	v_sub_f32_e32 v119, v158, v138
	;; [unrolled: 1-line block ×3, first 2 shown]
	v_fmac_f32_e32 v125, 0xbf737871, v120
	v_fmac_f32_e32 v43, 0x3f167918, v121
	v_add_f32_e32 v119, v119, v134
	v_fmac_f32_e32 v125, 0xbf167918, v121
	v_fmac_f32_e32 v43, 0x3e9e377a, v119
	;; [unrolled: 1-line block ×3, first 2 shown]
	v_add_f32_e32 v119, v158, v162
	v_add_f32_e32 v41, v117, v158
	v_fmac_f32_e32 v117, -0.5, v119
	v_mov_b32_e32 v119, v117
	v_add_f32_e32 v1, v1, v135
	v_add_f32_e32 v11, v11, v136
	;; [unrolled: 1-line block ×4, first 2 shown]
	v_fmac_f32_e32 v119, 0xbf737871, v121
	v_sub_f32_e32 v134, v138, v158
	v_sub_f32_e32 v135, v160, v162
	v_fmac_f32_e32 v117, 0x3f737871, v121
	v_add_f32_e32 v11, v11, v146
	v_add_f32_e32 v19, v19, v149
	v_add_f32_e32 v40, v40, v139
	v_add_f32_e32 v41, v41, v160
	v_fmac_f32_e32 v119, 0x3f167918, v120
	v_add_f32_e32 v134, v134, v135
	v_fmac_f32_e32 v117, 0xbf167918, v120
	v_add_f32_e32 v1, v1, v140
	v_add_f32_e32 v11, v11, v144
	;; [unrolled: 1-line block ×5, first 2 shown]
	v_fmac_f32_e32 v119, 0x3e9e377a, v134
	v_fmac_f32_e32 v117, 0x3e9e377a, v134
	v_add_f32_e32 v19, v19, v152
	s_barrier
	ds_write2_b64 v174, v[0:1], v[4:5] offset1:13
	ds_write2_b64 v174, v[8:9], v[6:7] offset0:26 offset1:39
	ds_write_b64 v174, v[2:3] offset:416
	ds_write2_b64 v197, v[10:11], v[14:15] offset1:13
	ds_write2_b64 v197, v[16:17], v[126:127] offset0:26 offset1:39
	ds_write_b64 v197, v[12:13] offset:416
	;; [unrolled: 3-line block ×5, first 2 shown]
	s_waitcnt lgkmcnt(0)
	s_barrier
	ds_read2_b64 v[12:15], v205 offset1:39
	ds_read2_b64 v[120:123], v131 offset0:69 offset1:108
	ds_read2_b64 v[116:119], v128 offset0:138 offset1:177
	;; [unrolled: 1-line block ×6, first 2 shown]
	v_add_u32_e32 v0, 0xc00, v205
	ds_read2_b64 v[32:35], v0 offset0:97 offset1:136
	ds_read2_b64 v[28:31], v130 offset0:38 offset1:77
	;; [unrolled: 1-line block ×5, first 2 shown]
	s_and_saveexec_b64 s[4:5], s[2:3]
	s_cbranch_execz .LBB0_19
; %bb.18:
	ds_read_b64 v[124:125], v205 offset:2496
	ds_read_b64 v[132:133], v205 offset:5096
	;; [unrolled: 1-line block ×3, first 2 shown]
.LBB0_19:
	s_or_b64 exec, exec, s[4:5]
	s_waitcnt lgkmcnt(10)
	v_mul_f32_e32 v130, v45, v121
	v_mul_f32_e32 v45, v45, v120
	v_fmac_f32_e32 v130, v44, v120
	v_fma_f32 v44, v44, v121, -v45
	s_waitcnt lgkmcnt(9)
	v_mul_f32_e32 v45, v47, v117
	v_mul_f32_e32 v47, v47, v116
	v_fmac_f32_e32 v45, v46, v116
	v_fma_f32 v46, v46, v117, -v47
	v_mul_f32_e32 v47, v49, v123
	v_mul_f32_e32 v49, v49, v122
	v_fmac_f32_e32 v47, v48, v122
	v_fma_f32 v48, v48, v123, -v49
	v_mul_f32_e32 v49, v51, v119
	v_mul_f32_e32 v51, v51, v118
	v_fmac_f32_e32 v49, v50, v118
	v_fma_f32 v50, v50, v119, -v51
	s_waitcnt lgkmcnt(7)
	v_mul_f32_e32 v51, v53, v41
	v_fmac_f32_e32 v51, v52, v40
	v_mul_f32_e32 v40, v53, v40
	v_fma_f32 v40, v52, v41, -v40
	s_waitcnt lgkmcnt(6)
	v_mul_f32_e32 v41, v55, v37
	v_fmac_f32_e32 v41, v54, v36
	v_mul_f32_e32 v36, v55, v36
	v_fma_f32 v36, v54, v37, -v36
	v_mul_f32_e32 v37, v57, v43
	v_fmac_f32_e32 v37, v56, v42
	v_mul_f32_e32 v42, v57, v42
	s_waitcnt lgkmcnt(3)
	v_mul_f32_e32 v53, v67, v29
	v_fma_f32 v42, v56, v43, -v42
	v_mul_f32_e32 v43, v59, v39
	v_fmac_f32_e32 v53, v66, v28
	v_mul_f32_e32 v28, v67, v28
	v_fmac_f32_e32 v43, v58, v38
	v_mul_f32_e32 v38, v59, v38
	v_fma_f32 v54, v66, v29, -v28
	v_mul_f32_e32 v55, v61, v35
	v_mul_f32_e32 v28, v61, v34
	s_waitcnt lgkmcnt(0)
	v_mul_f32_e32 v61, v71, v17
	v_fma_f32 v38, v58, v39, -v38
	v_mul_f32_e32 v39, v65, v33
	v_fma_f32 v56, v60, v35, -v28
	v_mul_f32_e32 v57, v63, v31
	v_mul_f32_e32 v28, v63, v30
	v_fmac_f32_e32 v61, v70, v16
	v_mul_f32_e32 v16, v71, v16
	v_fmac_f32_e32 v39, v64, v32
	;; [unrolled: 2-line block ×3, first 2 shown]
	v_fma_f32 v58, v62, v31, -v28
	v_fma_f32 v62, v70, v17, -v16
	v_mul_f32_e32 v16, v73, v26
	v_fma_f32 v52, v64, v33, -v32
	v_fma_f32 v64, v72, v27, -v16
	v_mul_f32_e32 v16, v75, v18
	v_add_f32_e32 v17, v130, v45
	v_mul_f32_e32 v65, v75, v19
	v_fma_f32 v66, v74, v19, -v16
	v_add_f32_e32 v16, v12, v130
	v_fma_f32 v12, -0.5, v17, v12
	v_mul_f32_e32 v59, v69, v25
	v_fmac_f32_e32 v65, v74, v18
	v_sub_f32_e32 v17, v44, v46
	v_mov_b32_e32 v18, v12
	v_add_f32_e32 v19, v44, v46
	v_fmac_f32_e32 v59, v68, v24
	v_mul_f32_e32 v24, v69, v24
	v_fmac_f32_e32 v18, 0xbf5db3d7, v17
	v_fmac_f32_e32 v12, 0x3f5db3d7, v17
	v_add_f32_e32 v17, v13, v44
	v_fma_f32 v13, -0.5, v19, v13
	v_fmac_f32_e32 v55, v60, v34
	v_fma_f32 v60, v68, v25, -v24
	v_sub_f32_e32 v24, v130, v45
	v_mov_b32_e32 v19, v13
	v_add_f32_e32 v25, v47, v49
	v_mul_f32_e32 v63, v73, v27
	v_fmac_f32_e32 v19, 0x3f5db3d7, v24
	v_fmac_f32_e32 v13, 0xbf5db3d7, v24
	v_add_f32_e32 v24, v14, v47
	v_fma_f32 v14, -0.5, v25, v14
	v_fmac_f32_e32 v63, v72, v26
	v_sub_f32_e32 v25, v48, v50
	v_mov_b32_e32 v26, v14
	v_add_f32_e32 v27, v48, v50
	v_fmac_f32_e32 v26, 0xbf5db3d7, v25
	v_fmac_f32_e32 v14, 0x3f5db3d7, v25
	v_add_f32_e32 v25, v15, v48
	v_fmac_f32_e32 v15, -0.5, v27
	v_sub_f32_e32 v28, v47, v49
	v_mov_b32_e32 v27, v15
	v_add_f32_e32 v29, v51, v41
	v_fmac_f32_e32 v27, 0x3f5db3d7, v28
	v_fmac_f32_e32 v15, 0xbf5db3d7, v28
	v_add_f32_e32 v28, v8, v51
	v_fma_f32 v8, -0.5, v29, v8
	v_sub_f32_e32 v29, v40, v36
	v_mov_b32_e32 v30, v8
	v_add_f32_e32 v31, v40, v36
	v_fmac_f32_e32 v30, 0xbf5db3d7, v29
	v_fmac_f32_e32 v8, 0x3f5db3d7, v29
	v_add_f32_e32 v29, v9, v40
	v_fma_f32 v9, -0.5, v31, v9
	;; [unrolled: 7-line block ×3, first 2 shown]
	v_sub_f32_e32 v33, v42, v38
	v_mov_b32_e32 v34, v10
	v_add_f32_e32 v35, v42, v38
	v_fmac_f32_e32 v34, 0xbf5db3d7, v33
	v_fmac_f32_e32 v10, 0x3f5db3d7, v33
	v_add_f32_e32 v33, v11, v42
	v_fmac_f32_e32 v11, -0.5, v35
	v_add_f32_e32 v29, v29, v36
	v_sub_f32_e32 v36, v37, v43
	v_mov_b32_e32 v35, v11
	v_add_f32_e32 v37, v39, v53
	v_fmac_f32_e32 v35, 0x3f5db3d7, v36
	v_fmac_f32_e32 v11, 0xbf5db3d7, v36
	v_add_f32_e32 v36, v4, v39
	v_fma_f32 v4, -0.5, v37, v4
	v_add_f32_e32 v33, v33, v38
	v_sub_f32_e32 v37, v52, v54
	v_mov_b32_e32 v38, v4
	v_add_f32_e32 v40, v52, v54
	v_fmac_f32_e32 v38, 0xbf5db3d7, v37
	v_fmac_f32_e32 v4, 0x3f5db3d7, v37
	v_add_f32_e32 v37, v5, v52
	v_fma_f32 v5, -0.5, v40, v5
	;; [unrolled: 8-line block ×3, first 2 shown]
	v_add_f32_e32 v32, v32, v43
	v_sub_f32_e32 v41, v56, v58
	v_mov_b32_e32 v42, v6
	v_add_f32_e32 v43, v56, v58
	v_fmac_f32_e32 v42, 0xbf5db3d7, v41
	v_fmac_f32_e32 v6, 0x3f5db3d7, v41
	v_add_f32_e32 v41, v7, v56
	v_fmac_f32_e32 v7, -0.5, v43
	v_add_f32_e32 v16, v16, v45
	v_sub_f32_e32 v44, v55, v57
	v_mov_b32_e32 v43, v7
	v_add_f32_e32 v45, v59, v61
	v_fmac_f32_e32 v43, 0x3f5db3d7, v44
	v_fmac_f32_e32 v7, 0xbf5db3d7, v44
	v_add_f32_e32 v44, v0, v59
	v_fma_f32 v0, -0.5, v45, v0
	v_add_f32_e32 v17, v17, v46
	v_sub_f32_e32 v45, v60, v62
	v_mov_b32_e32 v46, v0
	v_add_f32_e32 v47, v60, v62
	v_fmac_f32_e32 v46, 0xbf5db3d7, v45
	v_fmac_f32_e32 v0, 0x3f5db3d7, v45
	v_add_f32_e32 v45, v1, v60
	v_fma_f32 v1, -0.5, v47, v1
	;; [unrolled: 8-line block ×3, first 2 shown]
	v_add_f32_e32 v25, v25, v50
	v_sub_f32_e32 v49, v64, v66
	v_mov_b32_e32 v50, v2
	v_add_f32_e32 v51, v64, v66
	v_add_f32_e32 v36, v36, v53
	;; [unrolled: 1-line block ×3, first 2 shown]
	v_fmac_f32_e32 v50, 0xbf5db3d7, v49
	v_fmac_f32_e32 v2, 0x3f5db3d7, v49
	v_add_f32_e32 v49, v3, v64
	v_fmac_f32_e32 v3, -0.5, v51
	s_barrier
	ds_write2_b64 v205, v[16:17], v[18:19] offset1:65
	ds_write_b64 v205, v[12:13] offset:1040
	ds_write2_b64 v169, v[24:25], v[26:27] offset1:65
	ds_write_b64 v169, v[14:15] offset:1040
	ds_write2_b64 v129, v[28:29], v[30:31] offset0:80 offset1:145
	ds_write_b64 v205, v[8:9] offset:2704
	ds_write2_b64 v186, v[32:33], v[34:35] offset1:65
	ds_write_b64 v186, v[10:11] offset:1040
	v_add_u32_e32 v8, 0x800, v210
	v_add_f32_e32 v40, v40, v57
	v_add_f32_e32 v41, v41, v58
	v_sub_f32_e32 v52, v63, v65
	v_mov_b32_e32 v51, v3
	ds_write2_b64 v8, v[36:37], v[38:39] offset0:134 offset1:199
	ds_write_b64 v210, v[4:5] offset:4160
	v_add_u32_e32 v4, 0x1000, v214
	v_add_u32_e32 v128, 0x270, v219
	v_add_u32_e32 v127, 0x3a8, v219
	v_add_u32_e32 v126, 0x4e0, v219
	v_add_f32_e32 v44, v44, v61
	v_add_f32_e32 v45, v45, v62
	;; [unrolled: 1-line block ×4, first 2 shown]
	v_fmac_f32_e32 v51, 0x3f5db3d7, v52
	ds_write2_b64 v4, v[40:41], v[42:43] offset0:73 offset1:138
	ds_write_b64 v214, v[6:7] offset:5720
	ds_write2_b64 v215, v[44:45], v[46:47] offset1:65
	ds_write_b64 v215, v[0:1] offset:1040
	v_add_u32_e32 v0, 0x1800, v218
	v_fmac_f32_e32 v3, 0xbf5db3d7, v52
	ds_write2_b64 v0, v[48:49], v[50:51] offset0:12 offset1:77
	ds_write_b64 v218, v[2:3] offset:7280
	s_and_saveexec_b64 s[4:5], s[2:3]
	s_cbranch_execz .LBB0_21
; %bb.20:
	v_mul_f32_e32 v0, v21, v132
	v_fma_f32 v2, v20, v133, -v0
	v_mul_f32_e32 v0, v23, v208
	v_fma_f32 v4, v22, v209, -v0
	v_add_f32_e32 v0, v2, v4
	v_mul_f32_e32 v6, v21, v133
	v_mul_f32_e32 v7, v23, v209
	v_fma_f32 v1, -0.5, v0, v125
	v_fmac_f32_e32 v6, v20, v132
	v_fmac_f32_e32 v7, v22, v208
	v_sub_f32_e32 v0, v6, v7
	v_mov_b32_e32 v3, v1
	v_fmac_f32_e32 v3, 0xbf5db3d7, v0
	v_fmac_f32_e32 v1, 0x3f5db3d7, v0
	v_add_f32_e32 v0, v125, v2
	v_add_f32_e32 v5, v0, v4
	;; [unrolled: 1-line block ×3, first 2 shown]
	v_fma_f32 v0, -0.5, v0, v124
	v_sub_f32_e32 v4, v2, v4
	v_mov_b32_e32 v2, v0
	v_fmac_f32_e32 v2, 0x3f5db3d7, v4
	v_fmac_f32_e32 v0, 0xbf5db3d7, v4
	v_add_f32_e32 v4, v124, v6
	v_add_f32_e32 v4, v4, v7
	v_add_u32_e32 v6, 0x1800, v168
	ds_write2_b64 v6, v[4:5], v[0:1] offset0:12 offset1:77
	ds_write_b64 v168, v[2:3] offset:7280
.LBB0_21:
	s_or_b64 exec, exec, s[4:5]
	s_waitcnt lgkmcnt(0)
	s_barrier
	ds_read2_b64 v[8:11], v205 offset1:39
	ds_read2_b64 v[0:3], v205 offset0:156 offset1:195
	v_add_u32_e32 v16, 0x800, v205
	ds_read2_b64 v[18:21], v16 offset0:134 offset1:173
	v_add_u32_e32 v15, 0x1000, v205
	;; [unrolled: 2-line block ×3, first 2 shown]
	ds_read2_b64 v[26:29], v14 offset0:12 offset1:51
	s_waitcnt lgkmcnt(3)
	v_mul_f32_e32 v56, v85, v3
	v_fmac_f32_e32 v56, v84, v2
	v_mul_f32_e32 v2, v85, v2
	v_fma_f32 v57, v84, v3, -v2
	s_waitcnt lgkmcnt(2)
	v_mul_f32_e32 v2, v87, v18
	v_fma_f32 v59, v86, v19, -v2
	s_waitcnt lgkmcnt(1)
	v_mul_f32_e32 v60, v77, v25
	v_mul_f32_e32 v2, v77, v24
	v_add_u32_e32 v17, 0x400, v205
	v_fmac_f32_e32 v60, v76, v24
	v_fma_f32 v24, v76, v25, -v2
	s_waitcnt lgkmcnt(0)
	v_mul_f32_e32 v25, v79, v27
	v_mul_f32_e32 v2, v79, v26
	ds_read2_b64 v[30:33], v17 offset0:106 offset1:145
	ds_read2_b64 v[34:37], v15 offset0:112 offset1:151
	ds_read2_b64 v[4:7], v205 offset0:78 offset1:117
	ds_read2_b64 v[38:41], v16 offset0:212 offset1:251
	ds_read2_b64 v[42:45], v14 offset0:90 offset1:129
	ds_read2_b64 v[46:49], v16 offset0:56 offset1:95
	ds_read2_b64 v[50:53], v15 offset0:190 offset1:229
	ds_read_b64 v[54:55], v205 offset:7488
	v_fmac_f32_e32 v25, v78, v26
	v_fma_f32 v26, v78, v27, -v2
	s_waitcnt lgkmcnt(7)
	v_mul_f32_e32 v2, v89, v30
	v_fma_f32 v62, v88, v31, -v2
	v_mul_f32_e32 v2, v91, v20
	v_fma_f32 v63, v90, v21, -v2
	s_waitcnt lgkmcnt(6)
	v_mul_f32_e32 v64, v81, v35
	v_mul_f32_e32 v2, v81, v34
	v_fmac_f32_e32 v64, v80, v34
	v_fma_f32 v34, v80, v35, -v2
	v_mul_f32_e32 v2, v83, v28
	v_fma_f32 v65, v82, v29, -v2
	v_mul_f32_e32 v2, v97, v32
	v_fma_f32 v67, v96, v33, -v2
	s_waitcnt lgkmcnt(4)
	v_mul_f32_e32 v2, v99, v38
	v_fma_f32 v69, v98, v39, -v2
	v_mul_f32_e32 v2, v93, v36
	v_mul_f32_e32 v68, v99, v39
	v_mul_f32_e32 v39, v93, v37
	v_fma_f32 v70, v92, v37, -v2
	s_waitcnt lgkmcnt(3)
	v_mul_f32_e32 v37, v95, v43
	v_mul_f32_e32 v2, v95, v42
	;; [unrolled: 1-line block ×3, first 2 shown]
	v_fmac_f32_e32 v37, v94, v42
	v_fma_f32 v42, v94, v43, -v2
	s_waitcnt lgkmcnt(2)
	v_mul_f32_e32 v2, v105, v46
	v_fmac_f32_e32 v58, v86, v18
	v_fma_f32 v72, v104, v47, -v2
	v_mul_f32_e32 v2, v107, v40
	v_fma_f32 v73, v106, v41, -v2
	s_waitcnt lgkmcnt(1)
	v_mul_f32_e32 v74, v101, v51
	v_mul_f32_e32 v2, v101, v50
	v_add_f32_e32 v3, v58, v60
	v_mul_f32_e32 v61, v89, v31
	v_mul_f32_e32 v31, v91, v21
	v_fmac_f32_e32 v74, v100, v50
	v_fma_f32 v50, v100, v51, -v2
	v_mul_f32_e32 v2, v103, v44
	v_fma_f32 v18, -0.5, v3, v8
	v_fmac_f32_e32 v31, v90, v20
	v_fma_f32 v75, v102, v45, -v2
	v_mul_f32_e32 v2, v113, v48
	v_mul_f32_e32 v78, v115, v23
	v_sub_f32_e32 v3, v57, v26
	v_mov_b32_e32 v20, v18
	v_fma_f32 v77, v112, v49, -v2
	v_fmac_f32_e32 v78, v114, v22
	v_mul_f32_e32 v2, v115, v22
	v_fmac_f32_e32 v20, 0xbf737871, v3
	v_sub_f32_e32 v19, v59, v24
	v_sub_f32_e32 v21, v56, v58
	;; [unrolled: 1-line block ×3, first 2 shown]
	v_fmac_f32_e32 v18, 0x3f737871, v3
	v_fma_f32 v79, v114, v23, -v2
	v_mul_f32_e32 v2, v109, v52
	v_fmac_f32_e32 v20, 0xbf167918, v19
	v_add_f32_e32 v21, v21, v22
	v_fmac_f32_e32 v18, 0x3f167918, v19
	v_mul_f32_e32 v35, v83, v29
	v_fma_f32 v81, v108, v53, -v2
	s_waitcnt lgkmcnt(0)
	v_mul_f32_e32 v2, v111, v54
	v_fmac_f32_e32 v20, 0x3e9e377a, v21
	v_fmac_f32_e32 v18, 0x3e9e377a, v21
	v_add_f32_e32 v21, v56, v25
	v_fmac_f32_e32 v35, v82, v28
	v_fma_f32 v82, v110, v55, -v2
	v_add_f32_e32 v2, v8, v56
	v_fma_f32 v8, -0.5, v21, v8
	v_mov_b32_e32 v22, v8
	v_add_f32_e32 v2, v2, v58
	v_fmac_f32_e32 v22, 0x3f737871, v19
	v_sub_f32_e32 v21, v58, v56
	v_sub_f32_e32 v23, v60, v25
	v_fmac_f32_e32 v8, 0xbf737871, v19
	v_add_f32_e32 v19, v59, v24
	v_add_f32_e32 v2, v2, v60
	v_fmac_f32_e32 v22, 0xbf167918, v3
	v_add_f32_e32 v21, v21, v23
	v_fmac_f32_e32 v8, 0x3f167918, v3
	v_fma_f32 v19, -0.5, v19, v9
	v_add_f32_e32 v2, v2, v25
	v_fmac_f32_e32 v22, 0x3e9e377a, v21
	v_fmac_f32_e32 v8, 0x3e9e377a, v21
	v_sub_f32_e32 v25, v56, v25
	v_mov_b32_e32 v21, v19
	v_fmac_f32_e32 v21, 0x3f737871, v25
	v_sub_f32_e32 v27, v58, v60
	v_sub_f32_e32 v23, v57, v59
	;; [unrolled: 1-line block ×3, first 2 shown]
	v_fmac_f32_e32 v19, 0xbf737871, v25
	v_fmac_f32_e32 v21, 0x3f167918, v27
	v_add_f32_e32 v23, v23, v28
	v_fmac_f32_e32 v19, 0xbf167918, v27
	v_fmac_f32_e32 v21, 0x3e9e377a, v23
	;; [unrolled: 1-line block ×3, first 2 shown]
	v_add_f32_e32 v23, v57, v26
	v_add_f32_e32 v3, v9, v57
	v_fma_f32 v9, -0.5, v23, v9
	v_mov_b32_e32 v23, v9
	v_add_f32_e32 v3, v3, v59
	v_fmac_f32_e32 v23, 0xbf737871, v27
	v_fmac_f32_e32 v9, 0x3f737871, v27
	v_add_f32_e32 v3, v3, v24
	v_fmac_f32_e32 v23, 0x3f167918, v25
	v_fmac_f32_e32 v9, 0xbf167918, v25
	v_add_f32_e32 v25, v31, v64
	v_add_f32_e32 v3, v3, v26
	v_sub_f32_e32 v28, v59, v57
	v_sub_f32_e32 v24, v24, v26
	v_fma_f32 v26, -0.5, v25, v10
	v_fmac_f32_e32 v61, v88, v30
	v_add_f32_e32 v24, v28, v24
	v_sub_f32_e32 v25, v62, v65
	v_mov_b32_e32 v28, v26
	v_fmac_f32_e32 v28, 0xbf737871, v25
	v_sub_f32_e32 v27, v63, v34
	v_sub_f32_e32 v29, v61, v31
	;; [unrolled: 1-line block ×3, first 2 shown]
	v_fmac_f32_e32 v26, 0x3f737871, v25
	v_fmac_f32_e32 v28, 0xbf167918, v27
	v_add_f32_e32 v29, v29, v30
	v_fmac_f32_e32 v26, 0x3f167918, v27
	v_fmac_f32_e32 v28, 0x3e9e377a, v29
	;; [unrolled: 1-line block ×3, first 2 shown]
	v_add_f32_e32 v29, v61, v35
	v_fmac_f32_e32 v23, 0x3e9e377a, v24
	v_fmac_f32_e32 v9, 0x3e9e377a, v24
	v_add_f32_e32 v24, v10, v61
	v_fma_f32 v10, -0.5, v29, v10
	v_mul_f32_e32 v66, v97, v33
	v_mov_b32_e32 v30, v10
	v_fmac_f32_e32 v66, v96, v32
	v_fmac_f32_e32 v30, 0x3f737871, v27
	v_sub_f32_e32 v29, v31, v61
	v_sub_f32_e32 v32, v64, v35
	v_fmac_f32_e32 v10, 0xbf737871, v27
	v_add_f32_e32 v27, v63, v34
	v_add_f32_e32 v24, v24, v31
	v_fmac_f32_e32 v30, 0xbf167918, v25
	v_add_f32_e32 v29, v29, v32
	v_fmac_f32_e32 v10, 0x3f167918, v25
	v_fma_f32 v27, -0.5, v27, v11
	v_add_f32_e32 v24, v24, v64
	v_fmac_f32_e32 v30, 0x3e9e377a, v29
	v_fmac_f32_e32 v10, 0x3e9e377a, v29
	v_sub_f32_e32 v32, v61, v35
	v_mov_b32_e32 v29, v27
	v_add_f32_e32 v24, v24, v35
	v_fmac_f32_e32 v29, 0x3f737871, v32
	v_sub_f32_e32 v33, v31, v64
	v_sub_f32_e32 v31, v62, v63
	;; [unrolled: 1-line block ×3, first 2 shown]
	v_fmac_f32_e32 v27, 0xbf737871, v32
	v_fmac_f32_e32 v29, 0x3f167918, v33
	v_add_f32_e32 v31, v31, v35
	v_fmac_f32_e32 v27, 0xbf167918, v33
	v_fmac_f32_e32 v29, 0x3e9e377a, v31
	;; [unrolled: 1-line block ×3, first 2 shown]
	v_add_f32_e32 v31, v62, v65
	v_add_f32_e32 v25, v11, v62
	v_fmac_f32_e32 v11, -0.5, v31
	v_add_f32_e32 v25, v25, v63
	v_mov_b32_e32 v31, v11
	v_fmac_f32_e32 v68, v98, v38
	v_fmac_f32_e32 v39, v92, v36
	v_add_f32_e32 v25, v25, v34
	v_fmac_f32_e32 v31, 0xbf737871, v33
	v_sub_f32_e32 v35, v63, v62
	v_sub_f32_e32 v34, v34, v65
	v_fmac_f32_e32 v11, 0x3f737871, v33
	v_fmac_f32_e32 v31, 0x3f167918, v32
	v_add_f32_e32 v34, v35, v34
	v_fmac_f32_e32 v11, 0xbf167918, v32
	v_add_f32_e32 v33, v68, v39
	v_fmac_f32_e32 v31, 0x3e9e377a, v34
	v_fmac_f32_e32 v11, 0x3e9e377a, v34
	v_fma_f32 v34, -0.5, v33, v4
	v_mul_f32_e32 v71, v105, v47
	v_mul_f32_e32 v47, v107, v41
	v_sub_f32_e32 v33, v67, v42
	v_mov_b32_e32 v36, v34
	v_fmac_f32_e32 v47, v106, v40
	v_fmac_f32_e32 v36, 0xbf737871, v33
	v_sub_f32_e32 v35, v69, v70
	v_sub_f32_e32 v38, v66, v68
	;; [unrolled: 1-line block ×3, first 2 shown]
	v_fmac_f32_e32 v34, 0x3f737871, v33
	v_fmac_f32_e32 v36, 0xbf167918, v35
	v_add_f32_e32 v38, v38, v40
	v_fmac_f32_e32 v34, 0x3f167918, v35
	v_fmac_f32_e32 v36, 0x3e9e377a, v38
	;; [unrolled: 1-line block ×3, first 2 shown]
	v_add_f32_e32 v38, v66, v37
	v_add_f32_e32 v32, v4, v66
	v_fma_f32 v4, -0.5, v38, v4
	v_mov_b32_e32 v38, v4
	v_add_f32_e32 v32, v32, v68
	v_fmac_f32_e32 v38, 0x3f737871, v35
	v_sub_f32_e32 v40, v68, v66
	v_sub_f32_e32 v41, v39, v37
	v_fmac_f32_e32 v4, 0xbf737871, v35
	v_add_f32_e32 v35, v69, v70
	v_add_f32_e32 v32, v32, v39
	v_fmac_f32_e32 v38, 0xbf167918, v33
	v_add_f32_e32 v40, v40, v41
	v_fmac_f32_e32 v4, 0x3f167918, v33
	v_fma_f32 v35, -0.5, v35, v5
	v_add_f32_e32 v32, v32, v37
	v_fmac_f32_e32 v38, 0x3e9e377a, v40
	v_fmac_f32_e32 v4, 0x3e9e377a, v40
	v_sub_f32_e32 v40, v66, v37
	v_mov_b32_e32 v37, v35
	v_fmac_f32_e32 v37, 0x3f737871, v40
	v_sub_f32_e32 v41, v68, v39
	v_sub_f32_e32 v39, v67, v69
	;; [unrolled: 1-line block ×3, first 2 shown]
	v_fmac_f32_e32 v35, 0xbf737871, v40
	v_fmac_f32_e32 v37, 0x3f167918, v41
	v_add_f32_e32 v39, v39, v43
	v_fmac_f32_e32 v35, 0xbf167918, v41
	v_add_f32_e32 v33, v5, v67
	v_fmac_f32_e32 v37, 0x3e9e377a, v39
	v_fmac_f32_e32 v35, 0x3e9e377a, v39
	v_add_f32_e32 v39, v67, v42
	v_add_f32_e32 v33, v33, v69
	v_fma_f32 v5, -0.5, v39, v5
	v_add_f32_e32 v33, v33, v70
	v_mov_b32_e32 v39, v5
	v_add_f32_e32 v33, v33, v42
	v_fmac_f32_e32 v39, 0xbf737871, v41
	v_sub_f32_e32 v43, v69, v67
	v_sub_f32_e32 v42, v70, v42
	v_fmac_f32_e32 v5, 0x3f737871, v41
	v_fmac_f32_e32 v39, 0x3f167918, v40
	v_add_f32_e32 v42, v43, v42
	v_fmac_f32_e32 v5, 0xbf167918, v40
	v_add_f32_e32 v41, v47, v74
	v_mul_f32_e32 v51, v103, v45
	v_fmac_f32_e32 v39, 0x3e9e377a, v42
	v_fmac_f32_e32 v5, 0x3e9e377a, v42
	v_fma_f32 v42, -0.5, v41, v6
	v_fmac_f32_e32 v71, v104, v46
	v_fmac_f32_e32 v51, v102, v44
	v_sub_f32_e32 v41, v72, v75
	v_mov_b32_e32 v44, v42
	v_fmac_f32_e32 v44, 0xbf737871, v41
	v_sub_f32_e32 v43, v73, v50
	v_sub_f32_e32 v45, v71, v47
	;; [unrolled: 1-line block ×3, first 2 shown]
	v_fmac_f32_e32 v42, 0x3f737871, v41
	v_fmac_f32_e32 v44, 0xbf167918, v43
	v_add_f32_e32 v45, v45, v46
	v_fmac_f32_e32 v42, 0x3f167918, v43
	v_fmac_f32_e32 v44, 0x3e9e377a, v45
	;; [unrolled: 1-line block ×3, first 2 shown]
	v_add_f32_e32 v45, v71, v51
	v_add_f32_e32 v40, v6, v71
	v_fma_f32 v6, -0.5, v45, v6
	v_mul_f32_e32 v76, v113, v49
	v_mov_b32_e32 v46, v6
	v_fmac_f32_e32 v76, v112, v48
	v_fmac_f32_e32 v46, 0x3f737871, v43
	v_sub_f32_e32 v45, v47, v71
	v_sub_f32_e32 v48, v74, v51
	v_fmac_f32_e32 v6, 0xbf737871, v43
	v_add_f32_e32 v43, v73, v50
	v_add_f32_e32 v40, v40, v47
	v_fmac_f32_e32 v46, 0xbf167918, v41
	v_add_f32_e32 v45, v45, v48
	v_fmac_f32_e32 v6, 0x3f167918, v41
	v_fma_f32 v43, -0.5, v43, v7
	v_add_f32_e32 v40, v40, v74
	v_fmac_f32_e32 v46, 0x3e9e377a, v45
	v_fmac_f32_e32 v6, 0x3e9e377a, v45
	v_sub_f32_e32 v48, v71, v51
	v_mov_b32_e32 v45, v43
	v_add_f32_e32 v40, v40, v51
	v_fmac_f32_e32 v45, 0x3f737871, v48
	v_sub_f32_e32 v49, v47, v74
	v_sub_f32_e32 v47, v72, v73
	;; [unrolled: 1-line block ×3, first 2 shown]
	v_fmac_f32_e32 v43, 0xbf737871, v48
	v_fmac_f32_e32 v45, 0x3f167918, v49
	v_add_f32_e32 v47, v47, v51
	v_fmac_f32_e32 v43, 0xbf167918, v49
	v_fmac_f32_e32 v45, 0x3e9e377a, v47
	;; [unrolled: 1-line block ×3, first 2 shown]
	v_add_f32_e32 v47, v72, v75
	v_add_f32_e32 v41, v7, v72
	v_fmac_f32_e32 v7, -0.5, v47
	v_mul_f32_e32 v80, v109, v53
	v_add_f32_e32 v41, v41, v73
	v_mov_b32_e32 v47, v7
	v_fmac_f32_e32 v80, v108, v52
	v_add_f32_e32 v41, v41, v50
	v_fmac_f32_e32 v47, 0xbf737871, v49
	v_sub_f32_e32 v51, v73, v72
	v_sub_f32_e32 v50, v50, v75
	v_fmac_f32_e32 v7, 0x3f737871, v49
	v_fmac_f32_e32 v47, 0x3f167918, v48
	v_add_f32_e32 v50, v51, v50
	v_fmac_f32_e32 v7, 0xbf167918, v48
	v_add_f32_e32 v49, v78, v80
	v_mul_f32_e32 v53, v111, v55
	v_fmac_f32_e32 v47, 0x3e9e377a, v50
	v_fmac_f32_e32 v7, 0x3e9e377a, v50
	v_fma_f32 v50, -0.5, v49, v0
	v_fmac_f32_e32 v53, v110, v54
	v_sub_f32_e32 v49, v77, v82
	v_mov_b32_e32 v52, v50
	v_fmac_f32_e32 v52, 0xbf737871, v49
	v_sub_f32_e32 v51, v79, v81
	v_sub_f32_e32 v54, v76, v78
	;; [unrolled: 1-line block ×3, first 2 shown]
	v_fmac_f32_e32 v50, 0x3f737871, v49
	v_fmac_f32_e32 v52, 0xbf167918, v51
	v_add_f32_e32 v54, v54, v55
	v_fmac_f32_e32 v50, 0x3f167918, v51
	v_fmac_f32_e32 v52, 0x3e9e377a, v54
	;; [unrolled: 1-line block ×3, first 2 shown]
	v_add_f32_e32 v54, v76, v53
	v_add_f32_e32 v48, v0, v76
	v_fma_f32 v0, -0.5, v54, v0
	v_mov_b32_e32 v54, v0
	v_add_f32_e32 v48, v48, v78
	v_fmac_f32_e32 v54, 0x3f737871, v51
	v_fmac_f32_e32 v0, 0xbf737871, v51
	v_add_f32_e32 v51, v79, v81
	v_add_f32_e32 v48, v48, v80
	v_sub_f32_e32 v55, v78, v76
	v_sub_f32_e32 v56, v80, v53
	v_fma_f32 v51, -0.5, v51, v1
	v_add_f32_e32 v48, v48, v53
	v_fmac_f32_e32 v54, 0xbf167918, v49
	v_add_f32_e32 v55, v55, v56
	v_fmac_f32_e32 v0, 0x3f167918, v49
	v_sub_f32_e32 v56, v76, v53
	v_mov_b32_e32 v53, v51
	v_add_f32_e32 v25, v25, v65
	v_fmac_f32_e32 v54, 0x3e9e377a, v55
	v_fmac_f32_e32 v0, 0x3e9e377a, v55
	;; [unrolled: 1-line block ×3, first 2 shown]
	v_sub_f32_e32 v57, v78, v80
	v_sub_f32_e32 v55, v77, v79
	;; [unrolled: 1-line block ×3, first 2 shown]
	v_fmac_f32_e32 v51, 0xbf737871, v56
	v_fmac_f32_e32 v53, 0x3f167918, v57
	v_add_f32_e32 v55, v55, v58
	v_fmac_f32_e32 v51, 0xbf167918, v57
	ds_write2_b64 v205, v[2:3], v[24:25] offset1:39
	v_add_u32_e32 v2, 0x600, v205
	v_fmac_f32_e32 v53, 0x3e9e377a, v55
	v_fmac_f32_e32 v51, 0x3e9e377a, v55
	v_add_f32_e32 v55, v77, v82
	ds_write2_b64 v2, v[28:29], v[22:23] offset0:42 offset1:198
	v_add_u32_e32 v2, 0xc00, v205
	v_add_u32_e32 v3, 0x1200, v205
	v_add_f32_e32 v49, v1, v77
	v_fmac_f32_e32 v1, -0.5, v55
	ds_write2_b64 v2, v[30:31], v[8:9] offset0:45 offset1:201
	ds_write2_b64 v3, v[10:11], v[18:19] offset0:48 offset1:204
	ds_write_b64 v205, v[26:27] offset:6552
	v_add_u32_e32 v3, 0x600, v128
	v_mov_b32_e32 v55, v1
	ds_write2_b64 v3, v[36:37], v[38:39] offset0:3 offset1:198
	v_add_u32_e32 v3, 0x1200, v128
	v_add_f32_e32 v41, v41, v75
	v_add_f32_e32 v49, v49, v79
	v_fmac_f32_e32 v55, 0xbf737871, v57
	v_sub_f32_e32 v58, v79, v77
	v_sub_f32_e32 v59, v81, v82
	ds_write2_b64 v3, v[4:5], v[34:35] offset0:9 offset1:204
	ds_write2_b64 v205, v[32:33], v[40:41] offset0:78 offset1:117
	v_add_u32_e32 v3, 0x600, v127
	v_add_f32_e32 v49, v49, v81
	v_fmac_f32_e32 v55, 0x3f167918, v56
	v_add_f32_e32 v58, v58, v59
	v_fmac_f32_e32 v1, 0x3f737871, v57
	ds_write2_b64 v3, v[44:45], v[46:47] offset0:3 offset1:198
	v_add_u32_e32 v3, 0x1200, v127
	v_add_f32_e32 v49, v49, v82
	v_fmac_f32_e32 v55, 0x3e9e377a, v58
	v_fmac_f32_e32 v1, 0xbf167918, v56
	ds_write2_b64 v3, v[6:7], v[42:43] offset0:9 offset1:204
	ds_write2_b64 v205, v[48:49], v[20:21] offset0:156 offset1:195
	v_add_u32_e32 v3, 0x600, v126
	v_mad_u64_u32 v[12:13], s[2:3], s10, v181, 0
	v_fmac_f32_e32 v1, 0x3e9e377a, v58
	ds_write2_b64 v3, v[52:53], v[54:55] offset0:3 offset1:198
	v_add_u32_e32 v3, 0x1200, v126
	ds_write2_b64 v3, v[0:1], v[50:51] offset0:9 offset1:204
	s_waitcnt lgkmcnt(0)
	s_barrier
	ds_read2_b64 v[3:6], v205 offset1:75
	v_mov_b32_e32 v0, v13
	v_mad_u64_u32 v[0:1], s[2:3], s11, v181, v[0:1]
	s_mov_b32 s2, 0xaa677344
	s_waitcnt lgkmcnt(0)
	v_mul_f32_e32 v1, v196, v4
	v_fmac_f32_e32 v1, v195, v3
	v_cvt_f64_f32_e32 v[7:8], v1
	v_mul_f32_e32 v1, v196, v3
	v_fma_f32 v1, v195, v4, -v1
	v_cvt_f64_f32_e32 v[3:4], v1
	s_mov_b32 s3, 0x3f50cdd9
	v_mul_f64 v[7:8], v[7:8], s[2:3]
	v_mad_u64_u32 v[9:10], s[4:5], s8, v185, 0
	v_mul_f64 v[3:4], v[3:4], s[2:3]
	v_mov_b32_e32 v13, v0
	v_mov_b32_e32 v0, v10
	v_mad_u64_u32 v[0:1], s[4:5], s9, v185, v[0:1]
	v_cvt_f32_f64_e32 v7, v[7:8]
	v_mov_b32_e32 v11, s15
	v_mov_b32_e32 v10, v0
	v_cvt_f32_f64_e32 v8, v[3:4]
	v_mul_f32_e32 v3, v217, v6
	v_fmac_f32_e32 v3, v216, v5
	v_cvt_f64_f32_e32 v[3:4], v3
	v_lshlrev_b64 v[0:1], 3, v[12:13]
	v_mul_f32_e32 v5, v217, v5
	v_fma_f32 v5, v216, v6, -v5
	v_cvt_f64_f32_e32 v[5:6], v5
	v_add_co_u32_e32 v12, vcc, s14, v0
	v_addc_co_u32_e32 v13, vcc, v11, v1, vcc
	v_mul_f64 v[0:1], v[3:4], s[2:3]
	v_lshlrev_b64 v[3:4], 3, v[9:10]
	v_mul_f64 v[9:10], v[5:6], s[2:3]
	v_add_co_u32_e32 v11, vcc, v12, v3
	v_addc_co_u32_e32 v12, vcc, v13, v4, vcc
	ds_read2_b64 v[3:6], v205 offset0:150 offset1:225
	global_store_dwordx2 v[11:12], v[7:8], off
	s_mul_i32 s4, s9, 0x4b
	s_mul_hi_u32 s5, s8, 0x4b
	v_cvt_f32_f64_e32 v0, v[0:1]
	s_waitcnt lgkmcnt(0)
	v_mul_f32_e32 v7, v194, v4
	v_fmac_f32_e32 v7, v193, v3
	v_mul_f32_e32 v3, v194, v3
	v_fma_f32 v3, v193, v4, -v3
	v_cvt_f64_f32_e32 v[3:4], v3
	v_cvt_f64_f32_e32 v[7:8], v7
	v_cvt_f32_f64_e32 v1, v[9:10]
	s_add_i32 s5, s5, s4
	v_mul_f64 v[3:4], v[3:4], s[2:3]
	v_mul_f64 v[7:8], v[7:8], s[2:3]
	s_mul_i32 s4, s8, 0x4b
	s_lshl_b64 s[4:5], s[4:5], 3
	v_mov_b32_e32 v13, s5
	v_add_co_u32_e32 v9, vcc, s4, v11
	v_addc_co_u32_e32 v10, vcc, v12, v13, vcc
	global_store_dwordx2 v[9:10], v[0:1], off
	v_cvt_f32_f64_e32 v1, v[3:4]
	v_mul_f32_e32 v3, v190, v6
	v_fmac_f32_e32 v3, v189, v5
	v_cvt_f32_f64_e32 v0, v[7:8]
	v_cvt_f64_f32_e32 v[7:8], v3
	v_mul_f32_e32 v3, v190, v5
	v_fma_f32 v3, v189, v6, -v3
	v_cvt_f64_f32_e32 v[11:12], v3
	ds_read2_b64 v[3:6], v16 offset0:44 offset1:119
	v_mul_f64 v[7:8], v[7:8], s[2:3]
	v_add_co_u32_e32 v9, vcc, s4, v9
	v_mul_f64 v[11:12], v[11:12], s[2:3]
	s_waitcnt lgkmcnt(0)
	v_mul_f32_e32 v18, v192, v4
	v_fmac_f32_e32 v18, v191, v3
	v_mul_f32_e32 v3, v192, v3
	v_fma_f32 v3, v191, v4, -v3
	v_cvt_f64_f32_e32 v[3:4], v3
	v_cvt_f64_f32_e32 v[18:19], v18
	v_addc_co_u32_e32 v10, vcc, v10, v13, vcc
	v_mul_f64 v[3:4], v[3:4], s[2:3]
	global_store_dwordx2 v[9:10], v[0:1], off
	v_cvt_f32_f64_e32 v0, v[7:8]
	v_mul_f64 v[7:8], v[18:19], s[2:3]
	v_cvt_f32_f64_e32 v1, v[11:12]
	v_add_co_u32_e32 v9, vcc, s4, v9
	v_addc_co_u32_e32 v10, vcc, v10, v13, vcc
	global_store_dwordx2 v[9:10], v[0:1], off
	v_cvt_f32_f64_e32 v1, v[3:4]
	v_mul_f32_e32 v3, v188, v6
	v_fmac_f32_e32 v3, v187, v5
	v_cvt_f32_f64_e32 v0, v[7:8]
	v_cvt_f64_f32_e32 v[7:8], v3
	v_mul_f32_e32 v3, v188, v5
	v_fma_f32 v3, v187, v6, -v3
	v_cvt_f64_f32_e32 v[11:12], v3
	ds_read2_b64 v[3:6], v2 offset0:66 offset1:141
	v_mul_f64 v[7:8], v[7:8], s[2:3]
	v_add_co_u32_e32 v9, vcc, s4, v9
	v_mul_f64 v[11:12], v[11:12], s[2:3]
	s_waitcnt lgkmcnt(0)
	v_mul_f32_e32 v18, v184, v4
	v_fmac_f32_e32 v18, v183, v3
	v_mul_f32_e32 v3, v184, v3
	v_fma_f32 v3, v183, v4, -v3
	v_cvt_f64_f32_e32 v[3:4], v3
	v_cvt_f64_f32_e32 v[18:19], v18
	v_addc_co_u32_e32 v10, vcc, v10, v13, vcc
	v_mul_f64 v[3:4], v[3:4], s[2:3]
	global_store_dwordx2 v[9:10], v[0:1], off
	v_cvt_f32_f64_e32 v0, v[7:8]
	v_mul_f64 v[7:8], v[18:19], s[2:3]
	v_cvt_f32_f64_e32 v1, v[11:12]
	v_add_co_u32_e32 v9, vcc, s4, v9
	v_addc_co_u32_e32 v10, vcc, v10, v13, vcc
	global_store_dwordx2 v[9:10], v[0:1], off
	v_cvt_f32_f64_e32 v1, v[3:4]
	v_mul_f32_e32 v3, v180, v6
	v_fmac_f32_e32 v3, v179, v5
	v_cvt_f32_f64_e32 v0, v[7:8]
	v_cvt_f64_f32_e32 v[7:8], v3
	v_mul_f32_e32 v3, v180, v5
	v_fma_f32 v3, v179, v6, -v3
	v_cvt_f64_f32_e32 v[11:12], v3
	ds_read2_b64 v[3:6], v15 offset0:88 offset1:163
	buffer_load_dword v20, off, s[24:27], 0 ; 4-byte Folded Reload
	buffer_load_dword v21, off, s[24:27], 0 offset:4 ; 4-byte Folded Reload
	v_mul_f64 v[7:8], v[7:8], s[2:3]
	v_mul_f64 v[11:12], v[11:12], s[2:3]
	v_add_co_u32_e32 v9, vcc, s4, v9
	v_addc_co_u32_e32 v10, vcc, v10, v13, vcc
	global_store_dwordx2 v[9:10], v[0:1], off
	v_add_co_u32_e32 v9, vcc, s4, v9
	v_cvt_f32_f64_e32 v0, v[7:8]
	v_cvt_f32_f64_e32 v1, v[11:12]
	v_addc_co_u32_e32 v10, vcc, v10, v13, vcc
	s_movk_i32 s6, 0x1000
	global_store_dwordx2 v[9:10], v[0:1], off
	v_add_co_u32_e32 v9, vcc, s4, v9
	v_addc_co_u32_e32 v10, vcc, v10, v13, vcc
	s_waitcnt vmcnt(2) lgkmcnt(0)
	v_mul_f32_e32 v18, v21, v4
	v_fmac_f32_e32 v18, v20, v3
	v_mul_f32_e32 v3, v21, v3
	v_fma_f32 v3, v20, v4, -v3
	v_cvt_f64_f32_e32 v[3:4], v3
	v_cvt_f64_f32_e32 v[18:19], v18
	v_mul_f64 v[3:4], v[3:4], s[2:3]
	v_mul_f64 v[7:8], v[18:19], s[2:3]
	v_cvt_f32_f64_e32 v1, v[3:4]
	v_mul_f32_e32 v3, v178, v6
	v_fmac_f32_e32 v3, v177, v5
	v_cvt_f32_f64_e32 v0, v[7:8]
	v_cvt_f64_f32_e32 v[7:8], v3
	v_mul_f32_e32 v3, v178, v5
	v_fma_f32 v3, v177, v6, -v3
	v_cvt_f64_f32_e32 v[11:12], v3
	v_add_u32_e32 v3, 0x1400, v205
	ds_read2_b64 v[3:6], v3 offset0:110 offset1:185
	v_mul_f64 v[7:8], v[7:8], s[2:3]
	v_mul_f64 v[11:12], v[11:12], s[2:3]
	global_store_dwordx2 v[9:10], v[0:1], off
	v_add_co_u32_e32 v9, vcc, s4, v9
	s_waitcnt lgkmcnt(0)
	v_mul_f32_e32 v18, v176, v4
	v_fmac_f32_e32 v18, v175, v3
	v_cvt_f64_f32_e32 v[18:19], v18
	v_cvt_f32_f64_e32 v0, v[7:8]
	v_cvt_f32_f64_e32 v1, v[11:12]
	v_addc_co_u32_e32 v10, vcc, v10, v13, vcc
	v_mul_f64 v[7:8], v[18:19], s[2:3]
	global_store_dwordx2 v[9:10], v[0:1], off
	v_mul_f32_e32 v3, v176, v3
	v_fma_f32 v3, v175, v4, -v3
	v_cvt_f64_f32_e32 v[3:4], v3
	v_add_co_u32_e32 v9, vcc, s4, v9
	v_addc_co_u32_e32 v10, vcc, v10, v13, vcc
	v_cvt_f32_f64_e32 v0, v[7:8]
	ds_read_b64 v[7:8], v205 offset:7200
	buffer_load_dword v18, off, s[24:27], 0 offset:8 ; 4-byte Folded Reload
	buffer_load_dword v19, off, s[24:27], 0 offset:12 ; 4-byte Folded Reload
	v_mul_f64 v[3:4], v[3:4], s[2:3]
	v_cvt_f32_f64_e32 v1, v[3:4]
	v_mul_f32_e32 v3, v212, v6
	v_fmac_f32_e32 v3, v211, v5
	v_cvt_f64_f32_e32 v[3:4], v3
	v_mul_f32_e32 v5, v212, v5
	v_fma_f32 v5, v211, v6, -v5
	v_cvt_f64_f32_e32 v[5:6], v5
	v_mul_f64 v[3:4], v[3:4], s[2:3]
	global_store_dwordx2 v[9:10], v[0:1], off
	v_mul_f64 v[5:6], v[5:6], s[2:3]
	v_cvt_f32_f64_e32 v0, v[3:4]
	v_cvt_f32_f64_e32 v1, v[5:6]
	v_add_co_u32_e32 v5, vcc, s4, v9
	v_addc_co_u32_e32 v6, vcc, v10, v13, vcc
	global_store_dwordx2 v[5:6], v[0:1], off
	v_add_co_u32_e32 v0, vcc, s4, v5
	v_addc_co_u32_e32 v1, vcc, v6, v13, vcc
	s_waitcnt vmcnt(2) lgkmcnt(0)
	v_mul_f32_e32 v11, v19, v8
	v_fmac_f32_e32 v11, v18, v7
	v_mul_f32_e32 v7, v19, v7
	v_fma_f32 v7, v18, v8, -v7
	v_cvt_f64_f32_e32 v[11:12], v11
	v_cvt_f64_f32_e32 v[7:8], v7
	v_mul_f64 v[3:4], v[11:12], s[2:3]
	v_mul_f64 v[7:8], v[7:8], s[2:3]
	v_cvt_f32_f64_e32 v3, v[3:4]
	v_cvt_f32_f64_e32 v4, v[7:8]
	global_store_dwordx2 v[0:1], v[3:4], off
	s_and_b64 exec, exec, s[0:1]
	s_cbranch_execz .LBB0_23
; %bb.22:
	global_load_dwordx2 v[7:8], v[199:200], off offset:312
	ds_read2_b64 v[3:6], v205 offset0:39 offset1:114
	v_mov_b32_e32 v11, s5
	s_waitcnt vmcnt(0) lgkmcnt(0)
	v_mul_f32_e32 v9, v4, v8
	v_mul_f32_e32 v8, v3, v8
	v_fmac_f32_e32 v9, v3, v7
	v_fma_f32 v7, v7, v4, -v8
	v_cvt_f64_f32_e32 v[3:4], v9
	v_cvt_f64_f32_e32 v[7:8], v7
	v_mov_b32_e32 v9, 0xffffe518
	v_mad_u64_u32 v[0:1], s[0:1], s8, v9, v[0:1]
	v_mul_f64 v[3:4], v[3:4], s[2:3]
	v_mul_f64 v[7:8], v[7:8], s[2:3]
	s_mul_i32 s0, s9, 0xffffe518
	s_sub_i32 s0, s0, s8
	v_add_u32_e32 v1, s0, v1
	v_cvt_f32_f64_e32 v3, v[3:4]
	v_cvt_f32_f64_e32 v4, v[7:8]
	global_store_dwordx2 v[0:1], v[3:4], off
	global_load_dwordx2 v[3:4], v[199:200], off offset:912
	v_add_co_u32_e32 v0, vcc, s4, v0
	v_addc_co_u32_e32 v1, vcc, v1, v11, vcc
	s_waitcnt vmcnt(0)
	v_mul_f32_e32 v7, v6, v4
	v_mul_f32_e32 v4, v5, v4
	v_fmac_f32_e32 v7, v5, v3
	v_fma_f32 v5, v3, v6, -v4
	v_cvt_f64_f32_e32 v[3:4], v7
	v_cvt_f64_f32_e32 v[5:6], v5
	v_mul_f64 v[3:4], v[3:4], s[2:3]
	v_mul_f64 v[5:6], v[5:6], s[2:3]
	v_cvt_f32_f64_e32 v3, v[3:4]
	v_cvt_f32_f64_e32 v4, v[5:6]
	global_store_dwordx2 v[0:1], v[3:4], off
	global_load_dwordx2 v[7:8], v[199:200], off offset:1512
	ds_read2_b64 v[3:6], v17 offset0:61 offset1:136
	v_add_co_u32_e32 v0, vcc, s4, v0
	v_addc_co_u32_e32 v1, vcc, v1, v11, vcc
	s_waitcnt vmcnt(0) lgkmcnt(0)
	v_mul_f32_e32 v9, v4, v8
	v_mul_f32_e32 v8, v3, v8
	v_fmac_f32_e32 v9, v3, v7
	v_fma_f32 v7, v7, v4, -v8
	v_cvt_f64_f32_e32 v[3:4], v9
	v_cvt_f64_f32_e32 v[7:8], v7
	v_mul_f64 v[3:4], v[3:4], s[2:3]
	v_mul_f64 v[7:8], v[7:8], s[2:3]
	v_cvt_f32_f64_e32 v3, v[3:4]
	v_cvt_f32_f64_e32 v4, v[7:8]
	global_store_dwordx2 v[0:1], v[3:4], off
	global_load_dwordx2 v[3:4], v[199:200], off offset:2112
	v_add_co_u32_e32 v0, vcc, s4, v0
	v_addc_co_u32_e32 v1, vcc, v1, v11, vcc
	s_waitcnt vmcnt(0)
	v_mul_f32_e32 v7, v6, v4
	v_mul_f32_e32 v4, v5, v4
	v_fmac_f32_e32 v7, v5, v3
	v_fma_f32 v5, v3, v6, -v4
	v_cvt_f64_f32_e32 v[3:4], v7
	v_cvt_f64_f32_e32 v[5:6], v5
	v_mul_f64 v[3:4], v[3:4], s[2:3]
	v_mul_f64 v[5:6], v[5:6], s[2:3]
	v_cvt_f32_f64_e32 v3, v[3:4]
	v_cvt_f32_f64_e32 v4, v[5:6]
	global_store_dwordx2 v[0:1], v[3:4], off
	global_load_dwordx2 v[7:8], v[199:200], off offset:2712
	ds_read2_b64 v[3:6], v16 offset0:83 offset1:158
	v_add_co_u32_e32 v0, vcc, s4, v0
	v_addc_co_u32_e32 v1, vcc, v1, v11, vcc
	s_waitcnt vmcnt(0) lgkmcnt(0)
	v_mul_f32_e32 v9, v4, v8
	v_mul_f32_e32 v8, v3, v8
	v_fmac_f32_e32 v9, v3, v7
	v_fma_f32 v7, v7, v4, -v8
	v_cvt_f64_f32_e32 v[3:4], v9
	v_cvt_f64_f32_e32 v[7:8], v7
	v_mul_f64 v[3:4], v[3:4], s[2:3]
	v_mul_f64 v[7:8], v[7:8], s[2:3]
	v_cvt_f32_f64_e32 v3, v[3:4]
	v_cvt_f32_f64_e32 v4, v[7:8]
	global_store_dwordx2 v[0:1], v[3:4], off
	global_load_dwordx2 v[3:4], v[199:200], off offset:3312
	s_waitcnt vmcnt(0)
	v_mul_f32_e32 v7, v6, v4
	v_mul_f32_e32 v4, v5, v4
	v_fmac_f32_e32 v7, v5, v3
	v_fma_f32 v5, v3, v6, -v4
	v_cvt_f64_f32_e32 v[3:4], v7
	v_cvt_f64_f32_e32 v[5:6], v5
	v_mul_f64 v[3:4], v[3:4], s[2:3]
	v_mul_f64 v[5:6], v[5:6], s[2:3]
	v_cvt_f32_f64_e32 v3, v[3:4]
	v_cvt_f32_f64_e32 v4, v[5:6]
	v_add_co_u32_e32 v5, vcc, s4, v0
	v_addc_co_u32_e32 v6, vcc, v1, v11, vcc
	global_store_dwordx2 v[5:6], v[3:4], off
	global_load_dwordx2 v[7:8], v[199:200], off offset:3912
	ds_read2_b64 v[0:3], v2 offset0:105 offset1:180
	v_add_co_u32_e32 v9, vcc, s6, v199
	v_addc_co_u32_e32 v10, vcc, 0, v200, vcc
	s_waitcnt vmcnt(0) lgkmcnt(0)
	v_mul_f32_e32 v4, v1, v8
	v_mul_f32_e32 v8, v0, v8
	v_fmac_f32_e32 v4, v0, v7
	v_fma_f32 v7, v7, v1, -v8
	v_cvt_f64_f32_e32 v[0:1], v4
	v_cvt_f64_f32_e32 v[7:8], v7
	v_add_co_u32_e32 v4, vcc, s4, v5
	v_mul_f64 v[0:1], v[0:1], s[2:3]
	v_mul_f64 v[7:8], v[7:8], s[2:3]
	v_addc_co_u32_e32 v5, vcc, v6, v11, vcc
	v_cvt_f32_f64_e32 v0, v[0:1]
	v_cvt_f32_f64_e32 v1, v[7:8]
	global_store_dwordx2 v[4:5], v[0:1], off
	global_load_dwordx2 v[0:1], v[9:10], off offset:416
	v_add_co_u32_e32 v4, vcc, s4, v4
	v_addc_co_u32_e32 v5, vcc, v5, v11, vcc
	s_waitcnt vmcnt(0)
	v_mul_f32_e32 v6, v3, v1
	v_mul_f32_e32 v1, v2, v1
	v_fmac_f32_e32 v6, v2, v0
	v_fma_f32 v2, v0, v3, -v1
	v_cvt_f64_f32_e32 v[0:1], v6
	v_cvt_f64_f32_e32 v[2:3], v2
	v_mul_f64 v[0:1], v[0:1], s[2:3]
	v_mul_f64 v[2:3], v[2:3], s[2:3]
	v_cvt_f32_f64_e32 v0, v[0:1]
	v_cvt_f32_f64_e32 v1, v[2:3]
	global_store_dwordx2 v[4:5], v[0:1], off
	global_load_dwordx2 v[6:7], v[9:10], off offset:1016
	ds_read2_b64 v[0:3], v15 offset0:127 offset1:202
	v_add_co_u32_e32 v4, vcc, s4, v4
	v_addc_co_u32_e32 v5, vcc, v5, v11, vcc
	s_waitcnt vmcnt(0) lgkmcnt(0)
	v_mul_f32_e32 v8, v1, v7
	v_mul_f32_e32 v7, v0, v7
	v_fmac_f32_e32 v8, v0, v6
	v_fma_f32 v6, v6, v1, -v7
	v_cvt_f64_f32_e32 v[0:1], v8
	v_cvt_f64_f32_e32 v[6:7], v6
	v_mul_f64 v[0:1], v[0:1], s[2:3]
	v_mul_f64 v[6:7], v[6:7], s[2:3]
	v_cvt_f32_f64_e32 v0, v[0:1]
	v_cvt_f32_f64_e32 v1, v[6:7]
	global_store_dwordx2 v[4:5], v[0:1], off
	global_load_dwordx2 v[0:1], v[9:10], off offset:1616
	v_add_co_u32_e32 v4, vcc, s4, v4
	v_addc_co_u32_e32 v5, vcc, v5, v11, vcc
	s_waitcnt vmcnt(0)
	v_mul_f32_e32 v6, v3, v1
	v_mul_f32_e32 v1, v2, v1
	v_fmac_f32_e32 v6, v2, v0
	v_fma_f32 v2, v0, v3, -v1
	v_cvt_f64_f32_e32 v[0:1], v6
	v_cvt_f64_f32_e32 v[2:3], v2
	v_mul_f64 v[0:1], v[0:1], s[2:3]
	v_mul_f64 v[2:3], v[2:3], s[2:3]
	v_cvt_f32_f64_e32 v0, v[0:1]
	v_cvt_f32_f64_e32 v1, v[2:3]
	global_store_dwordx2 v[4:5], v[0:1], off
	global_load_dwordx2 v[6:7], v[9:10], off offset:2216
	ds_read2_b64 v[0:3], v14 offset0:21 offset1:96
	v_add_co_u32_e32 v4, vcc, s4, v4
	v_addc_co_u32_e32 v5, vcc, v5, v11, vcc
	s_waitcnt vmcnt(0) lgkmcnt(0)
	v_mul_f32_e32 v8, v1, v7
	v_mul_f32_e32 v7, v0, v7
	v_fmac_f32_e32 v8, v0, v6
	v_fma_f32 v6, v6, v1, -v7
	v_cvt_f64_f32_e32 v[0:1], v8
	v_cvt_f64_f32_e32 v[6:7], v6
	v_mul_f64 v[0:1], v[0:1], s[2:3]
	v_mul_f64 v[6:7], v[6:7], s[2:3]
	v_cvt_f32_f64_e32 v0, v[0:1]
	v_cvt_f32_f64_e32 v1, v[6:7]
	global_store_dwordx2 v[4:5], v[0:1], off
	global_load_dwordx2 v[0:1], v[9:10], off offset:2816
	s_waitcnt vmcnt(0)
	v_mul_f32_e32 v6, v3, v1
	v_mul_f32_e32 v1, v2, v1
	v_fmac_f32_e32 v6, v2, v0
	v_fma_f32 v2, v0, v3, -v1
	v_cvt_f64_f32_e32 v[0:1], v6
	v_cvt_f64_f32_e32 v[2:3], v2
	v_mul_f64 v[0:1], v[0:1], s[2:3]
	v_mul_f64 v[2:3], v[2:3], s[2:3]
	v_cvt_f32_f64_e32 v0, v[0:1]
	v_cvt_f32_f64_e32 v1, v[2:3]
	v_add_co_u32_e32 v2, vcc, s4, v4
	v_addc_co_u32_e32 v3, vcc, v5, v11, vcc
	global_store_dwordx2 v[2:3], v[0:1], off
	global_load_dwordx2 v[0:1], v[9:10], off offset:3416
	ds_read_b64 v[4:5], v205 offset:7512
	v_add_co_u32_e32 v2, vcc, s4, v2
	v_addc_co_u32_e32 v3, vcc, v3, v11, vcc
	s_waitcnt vmcnt(0) lgkmcnt(0)
	v_mul_f32_e32 v6, v5, v1
	v_mul_f32_e32 v1, v4, v1
	v_fmac_f32_e32 v6, v4, v0
	v_fma_f32 v4, v0, v5, -v1
	v_cvt_f64_f32_e32 v[0:1], v6
	v_cvt_f64_f32_e32 v[4:5], v4
	v_mul_f64 v[0:1], v[0:1], s[2:3]
	v_mul_f64 v[4:5], v[4:5], s[2:3]
	v_cvt_f32_f64_e32 v0, v[0:1]
	v_cvt_f32_f64_e32 v1, v[4:5]
	global_store_dwordx2 v[2:3], v[0:1], off
.LBB0_23:
	s_endpgm
	.section	.rodata,"a",@progbits
	.p2align	6, 0x0
	.amdhsa_kernel bluestein_single_back_len975_dim1_sp_op_CI_CI
		.amdhsa_group_segment_fixed_size 23400
		.amdhsa_private_segment_fixed_size 128
		.amdhsa_kernarg_size 104
		.amdhsa_user_sgpr_count 6
		.amdhsa_user_sgpr_private_segment_buffer 1
		.amdhsa_user_sgpr_dispatch_ptr 0
		.amdhsa_user_sgpr_queue_ptr 0
		.amdhsa_user_sgpr_kernarg_segment_ptr 1
		.amdhsa_user_sgpr_dispatch_id 0
		.amdhsa_user_sgpr_flat_scratch_init 0
		.amdhsa_user_sgpr_private_segment_size 0
		.amdhsa_uses_dynamic_stack 0
		.amdhsa_system_sgpr_private_segment_wavefront_offset 1
		.amdhsa_system_sgpr_workgroup_id_x 1
		.amdhsa_system_sgpr_workgroup_id_y 0
		.amdhsa_system_sgpr_workgroup_id_z 0
		.amdhsa_system_sgpr_workgroup_info 0
		.amdhsa_system_vgpr_workitem_id 0
		.amdhsa_next_free_vgpr 256
		.amdhsa_next_free_sgpr 28
		.amdhsa_reserve_vcc 1
		.amdhsa_reserve_flat_scratch 0
		.amdhsa_float_round_mode_32 0
		.amdhsa_float_round_mode_16_64 0
		.amdhsa_float_denorm_mode_32 3
		.amdhsa_float_denorm_mode_16_64 3
		.amdhsa_dx10_clamp 1
		.amdhsa_ieee_mode 1
		.amdhsa_fp16_overflow 0
		.amdhsa_exception_fp_ieee_invalid_op 0
		.amdhsa_exception_fp_denorm_src 0
		.amdhsa_exception_fp_ieee_div_zero 0
		.amdhsa_exception_fp_ieee_overflow 0
		.amdhsa_exception_fp_ieee_underflow 0
		.amdhsa_exception_fp_ieee_inexact 0
		.amdhsa_exception_int_div_zero 0
	.end_amdhsa_kernel
	.text
.Lfunc_end0:
	.size	bluestein_single_back_len975_dim1_sp_op_CI_CI, .Lfunc_end0-bluestein_single_back_len975_dim1_sp_op_CI_CI
                                        ; -- End function
	.section	.AMDGPU.csdata,"",@progbits
; Kernel info:
; codeLenInByte = 31644
; NumSgprs: 32
; NumVgprs: 256
; ScratchSize: 128
; MemoryBound: 0
; FloatMode: 240
; IeeeMode: 1
; LDSByteSize: 23400 bytes/workgroup (compile time only)
; SGPRBlocks: 3
; VGPRBlocks: 63
; NumSGPRsForWavesPerEU: 32
; NumVGPRsForWavesPerEU: 256
; Occupancy: 1
; WaveLimiterHint : 1
; COMPUTE_PGM_RSRC2:SCRATCH_EN: 1
; COMPUTE_PGM_RSRC2:USER_SGPR: 6
; COMPUTE_PGM_RSRC2:TRAP_HANDLER: 0
; COMPUTE_PGM_RSRC2:TGID_X_EN: 1
; COMPUTE_PGM_RSRC2:TGID_Y_EN: 0
; COMPUTE_PGM_RSRC2:TGID_Z_EN: 0
; COMPUTE_PGM_RSRC2:TIDIG_COMP_CNT: 0
	.type	__hip_cuid_1cffefb91f44dfc0,@object ; @__hip_cuid_1cffefb91f44dfc0
	.section	.bss,"aw",@nobits
	.globl	__hip_cuid_1cffefb91f44dfc0
__hip_cuid_1cffefb91f44dfc0:
	.byte	0                               ; 0x0
	.size	__hip_cuid_1cffefb91f44dfc0, 1

	.ident	"AMD clang version 19.0.0git (https://github.com/RadeonOpenCompute/llvm-project roc-6.4.0 25133 c7fe45cf4b819c5991fe208aaa96edf142730f1d)"
	.section	".note.GNU-stack","",@progbits
	.addrsig
	.addrsig_sym __hip_cuid_1cffefb91f44dfc0
	.amdgpu_metadata
---
amdhsa.kernels:
  - .args:
      - .actual_access:  read_only
        .address_space:  global
        .offset:         0
        .size:           8
        .value_kind:     global_buffer
      - .actual_access:  read_only
        .address_space:  global
        .offset:         8
        .size:           8
        .value_kind:     global_buffer
      - .actual_access:  read_only
        .address_space:  global
        .offset:         16
        .size:           8
        .value_kind:     global_buffer
      - .actual_access:  read_only
        .address_space:  global
        .offset:         24
        .size:           8
        .value_kind:     global_buffer
      - .actual_access:  read_only
        .address_space:  global
        .offset:         32
        .size:           8
        .value_kind:     global_buffer
      - .offset:         40
        .size:           8
        .value_kind:     by_value
      - .address_space:  global
        .offset:         48
        .size:           8
        .value_kind:     global_buffer
      - .address_space:  global
        .offset:         56
        .size:           8
        .value_kind:     global_buffer
      - .address_space:  global
        .offset:         64
        .size:           8
        .value_kind:     global_buffer
      - .address_space:  global
        .offset:         72
        .size:           8
        .value_kind:     global_buffer
      - .offset:         80
        .size:           4
        .value_kind:     by_value
      - .address_space:  global
        .offset:         88
        .size:           8
        .value_kind:     global_buffer
      - .address_space:  global
        .offset:         96
        .size:           8
        .value_kind:     global_buffer
    .group_segment_fixed_size: 23400
    .kernarg_segment_align: 8
    .kernarg_segment_size: 104
    .language:       OpenCL C
    .language_version:
      - 2
      - 0
    .max_flat_workgroup_size: 117
    .name:           bluestein_single_back_len975_dim1_sp_op_CI_CI
    .private_segment_fixed_size: 128
    .sgpr_count:     32
    .sgpr_spill_count: 0
    .symbol:         bluestein_single_back_len975_dim1_sp_op_CI_CI.kd
    .uniform_work_group_size: 1
    .uses_dynamic_stack: false
    .vgpr_count:     256
    .vgpr_spill_count: 31
    .wavefront_size: 64
amdhsa.target:   amdgcn-amd-amdhsa--gfx906
amdhsa.version:
  - 1
  - 2
...

	.end_amdgpu_metadata
